;; amdgpu-corpus repo=ROCm/rocFFT kind=compiled arch=gfx906 opt=O3
	.text
	.amdgcn_target "amdgcn-amd-amdhsa--gfx906"
	.amdhsa_code_object_version 6
	.protected	fft_rtc_fwd_len2016_factors_2_2_2_2_2_3_3_7_wgs_224_tpt_112_halfLds_dp_ip_CI_unitstride_sbrr_C2R_dirReg ; -- Begin function fft_rtc_fwd_len2016_factors_2_2_2_2_2_3_3_7_wgs_224_tpt_112_halfLds_dp_ip_CI_unitstride_sbrr_C2R_dirReg
	.globl	fft_rtc_fwd_len2016_factors_2_2_2_2_2_3_3_7_wgs_224_tpt_112_halfLds_dp_ip_CI_unitstride_sbrr_C2R_dirReg
	.p2align	8
	.type	fft_rtc_fwd_len2016_factors_2_2_2_2_2_3_3_7_wgs_224_tpt_112_halfLds_dp_ip_CI_unitstride_sbrr_C2R_dirReg,@function
fft_rtc_fwd_len2016_factors_2_2_2_2_2_3_3_7_wgs_224_tpt_112_halfLds_dp_ip_CI_unitstride_sbrr_C2R_dirReg: ; @fft_rtc_fwd_len2016_factors_2_2_2_2_2_3_3_7_wgs_224_tpt_112_halfLds_dp_ip_CI_unitstride_sbrr_C2R_dirReg
; %bb.0:
	s_load_dwordx2 s[12:13], s[4:5], 0x50
	s_load_dwordx4 s[8:11], s[4:5], 0x0
	s_load_dwordx2 s[2:3], s[4:5], 0x18
	v_mul_u32_u24_e32 v1, 0x24a, v0
	v_lshrrev_b32_e32 v9, 16, v1
	v_mov_b32_e32 v3, 0
	s_waitcnt lgkmcnt(0)
	v_cmp_lt_u64_e64 s[0:1], s[10:11], 2
	v_mov_b32_e32 v1, 0
	v_lshl_add_u32 v5, s6, 1, v9
	v_mov_b32_e32 v6, v3
	s_and_b64 vcc, exec, s[0:1]
	v_mov_b32_e32 v2, 0
	s_cbranch_vccnz .LBB0_8
; %bb.1:
	s_load_dwordx2 s[0:1], s[4:5], 0x10
	s_add_u32 s6, s2, 8
	s_addc_u32 s7, s3, 0
	v_mov_b32_e32 v1, 0
	v_mov_b32_e32 v2, 0
	s_waitcnt lgkmcnt(0)
	s_add_u32 s14, s0, 8
	s_addc_u32 s15, s1, 0
	s_mov_b64 s[16:17], 1
.LBB0_2:                                ; =>This Inner Loop Header: Depth=1
	s_load_dwordx2 s[18:19], s[14:15], 0x0
                                        ; implicit-def: $vgpr7_vgpr8
	s_waitcnt lgkmcnt(0)
	v_or_b32_e32 v4, s19, v6
	v_cmp_ne_u64_e32 vcc, 0, v[3:4]
	s_and_saveexec_b64 s[0:1], vcc
	s_xor_b64 s[20:21], exec, s[0:1]
	s_cbranch_execz .LBB0_4
; %bb.3:                                ;   in Loop: Header=BB0_2 Depth=1
	v_cvt_f32_u32_e32 v4, s18
	v_cvt_f32_u32_e32 v7, s19
	s_sub_u32 s0, 0, s18
	s_subb_u32 s1, 0, s19
	v_mac_f32_e32 v4, 0x4f800000, v7
	v_rcp_f32_e32 v4, v4
	v_mul_f32_e32 v4, 0x5f7ffffc, v4
	v_mul_f32_e32 v7, 0x2f800000, v4
	v_trunc_f32_e32 v7, v7
	v_mac_f32_e32 v4, 0xcf800000, v7
	v_cvt_u32_f32_e32 v7, v7
	v_cvt_u32_f32_e32 v4, v4
	v_mul_lo_u32 v8, s0, v7
	v_mul_hi_u32 v10, s0, v4
	v_mul_lo_u32 v12, s1, v4
	v_mul_lo_u32 v11, s0, v4
	v_add_u32_e32 v8, v10, v8
	v_add_u32_e32 v8, v8, v12
	v_mul_hi_u32 v10, v4, v11
	v_mul_lo_u32 v12, v4, v8
	v_mul_hi_u32 v14, v4, v8
	v_mul_hi_u32 v13, v7, v11
	v_mul_lo_u32 v11, v7, v11
	v_mul_hi_u32 v15, v7, v8
	v_add_co_u32_e32 v10, vcc, v10, v12
	v_addc_co_u32_e32 v12, vcc, 0, v14, vcc
	v_mul_lo_u32 v8, v7, v8
	v_add_co_u32_e32 v10, vcc, v10, v11
	v_addc_co_u32_e32 v10, vcc, v12, v13, vcc
	v_addc_co_u32_e32 v11, vcc, 0, v15, vcc
	v_add_co_u32_e32 v8, vcc, v10, v8
	v_addc_co_u32_e32 v10, vcc, 0, v11, vcc
	v_add_co_u32_e32 v4, vcc, v4, v8
	v_addc_co_u32_e32 v7, vcc, v7, v10, vcc
	v_mul_lo_u32 v8, s0, v7
	v_mul_hi_u32 v10, s0, v4
	v_mul_lo_u32 v11, s1, v4
	v_mul_lo_u32 v12, s0, v4
	v_add_u32_e32 v8, v10, v8
	v_add_u32_e32 v8, v8, v11
	v_mul_lo_u32 v13, v4, v8
	v_mul_hi_u32 v14, v4, v12
	v_mul_hi_u32 v15, v4, v8
	;; [unrolled: 1-line block ×3, first 2 shown]
	v_mul_lo_u32 v12, v7, v12
	v_mul_hi_u32 v10, v7, v8
	v_add_co_u32_e32 v13, vcc, v14, v13
	v_addc_co_u32_e32 v14, vcc, 0, v15, vcc
	v_mul_lo_u32 v8, v7, v8
	v_add_co_u32_e32 v12, vcc, v13, v12
	v_addc_co_u32_e32 v11, vcc, v14, v11, vcc
	v_addc_co_u32_e32 v10, vcc, 0, v10, vcc
	v_add_co_u32_e32 v8, vcc, v11, v8
	v_addc_co_u32_e32 v10, vcc, 0, v10, vcc
	v_add_co_u32_e32 v4, vcc, v4, v8
	v_addc_co_u32_e32 v10, vcc, v7, v10, vcc
	v_mad_u64_u32 v[7:8], s[0:1], v5, v10, 0
	v_mul_hi_u32 v11, v5, v4
	v_add_co_u32_e32 v12, vcc, v11, v7
	v_addc_co_u32_e32 v13, vcc, 0, v8, vcc
	v_mad_u64_u32 v[7:8], s[0:1], v6, v4, 0
	v_mad_u64_u32 v[10:11], s[0:1], v6, v10, 0
	v_add_co_u32_e32 v4, vcc, v12, v7
	v_addc_co_u32_e32 v4, vcc, v13, v8, vcc
	v_addc_co_u32_e32 v7, vcc, 0, v11, vcc
	v_add_co_u32_e32 v4, vcc, v4, v10
	v_addc_co_u32_e32 v10, vcc, 0, v7, vcc
	v_mul_lo_u32 v11, s19, v4
	v_mul_lo_u32 v12, s18, v10
	v_mad_u64_u32 v[7:8], s[0:1], s18, v4, 0
	v_add3_u32 v8, v8, v12, v11
	v_sub_u32_e32 v11, v6, v8
	v_mov_b32_e32 v12, s19
	v_sub_co_u32_e32 v7, vcc, v5, v7
	v_subb_co_u32_e64 v11, s[0:1], v11, v12, vcc
	v_subrev_co_u32_e64 v12, s[0:1], s18, v7
	v_subbrev_co_u32_e64 v11, s[0:1], 0, v11, s[0:1]
	v_cmp_le_u32_e64 s[0:1], s19, v11
	v_cndmask_b32_e64 v13, 0, -1, s[0:1]
	v_cmp_le_u32_e64 s[0:1], s18, v12
	v_cndmask_b32_e64 v12, 0, -1, s[0:1]
	v_cmp_eq_u32_e64 s[0:1], s19, v11
	v_cndmask_b32_e64 v11, v13, v12, s[0:1]
	v_add_co_u32_e64 v12, s[0:1], 2, v4
	v_addc_co_u32_e64 v13, s[0:1], 0, v10, s[0:1]
	v_add_co_u32_e64 v14, s[0:1], 1, v4
	v_addc_co_u32_e64 v15, s[0:1], 0, v10, s[0:1]
	v_subb_co_u32_e32 v8, vcc, v6, v8, vcc
	v_cmp_ne_u32_e64 s[0:1], 0, v11
	v_cmp_le_u32_e32 vcc, s19, v8
	v_cndmask_b32_e64 v11, v15, v13, s[0:1]
	v_cndmask_b32_e64 v13, 0, -1, vcc
	v_cmp_le_u32_e32 vcc, s18, v7
	v_cndmask_b32_e64 v7, 0, -1, vcc
	v_cmp_eq_u32_e32 vcc, s19, v8
	v_cndmask_b32_e32 v7, v13, v7, vcc
	v_cmp_ne_u32_e32 vcc, 0, v7
	v_cndmask_b32_e64 v7, v14, v12, s[0:1]
	v_cndmask_b32_e32 v8, v10, v11, vcc
	v_cndmask_b32_e32 v7, v4, v7, vcc
.LBB0_4:                                ;   in Loop: Header=BB0_2 Depth=1
	s_andn2_saveexec_b64 s[0:1], s[20:21]
	s_cbranch_execz .LBB0_6
; %bb.5:                                ;   in Loop: Header=BB0_2 Depth=1
	v_cvt_f32_u32_e32 v4, s18
	s_sub_i32 s20, 0, s18
	v_rcp_iflag_f32_e32 v4, v4
	v_mul_f32_e32 v4, 0x4f7ffffe, v4
	v_cvt_u32_f32_e32 v4, v4
	v_mul_lo_u32 v7, s20, v4
	v_mul_hi_u32 v7, v4, v7
	v_add_u32_e32 v4, v4, v7
	v_mul_hi_u32 v4, v5, v4
	v_mul_lo_u32 v7, v4, s18
	v_add_u32_e32 v8, 1, v4
	v_sub_u32_e32 v7, v5, v7
	v_subrev_u32_e32 v10, s18, v7
	v_cmp_le_u32_e32 vcc, s18, v7
	v_cndmask_b32_e32 v7, v7, v10, vcc
	v_cndmask_b32_e32 v4, v4, v8, vcc
	v_add_u32_e32 v8, 1, v4
	v_cmp_le_u32_e32 vcc, s18, v7
	v_cndmask_b32_e32 v7, v4, v8, vcc
	v_mov_b32_e32 v8, v3
.LBB0_6:                                ;   in Loop: Header=BB0_2 Depth=1
	s_or_b64 exec, exec, s[0:1]
	v_mul_lo_u32 v4, v8, s18
	v_mul_lo_u32 v12, v7, s19
	v_mad_u64_u32 v[10:11], s[0:1], v7, s18, 0
	s_load_dwordx2 s[0:1], s[6:7], 0x0
	s_add_u32 s16, s16, 1
	v_add3_u32 v4, v11, v12, v4
	v_sub_co_u32_e32 v5, vcc, v5, v10
	v_subb_co_u32_e32 v4, vcc, v6, v4, vcc
	s_waitcnt lgkmcnt(0)
	v_mul_lo_u32 v4, s0, v4
	v_mul_lo_u32 v6, s1, v5
	v_mad_u64_u32 v[1:2], s[0:1], s0, v5, v[1:2]
	s_addc_u32 s17, s17, 0
	s_add_u32 s6, s6, 8
	v_add3_u32 v2, v6, v2, v4
	v_mov_b32_e32 v4, s10
	v_mov_b32_e32 v5, s11
	s_addc_u32 s7, s7, 0
	v_cmp_ge_u64_e32 vcc, s[16:17], v[4:5]
	s_add_u32 s14, s14, 8
	s_addc_u32 s15, s15, 0
	s_cbranch_vccnz .LBB0_9
; %bb.7:                                ;   in Loop: Header=BB0_2 Depth=1
	v_mov_b32_e32 v5, v7
	v_mov_b32_e32 v6, v8
	s_branch .LBB0_2
.LBB0_8:
	v_mov_b32_e32 v8, v6
	v_mov_b32_e32 v7, v5
.LBB0_9:
	s_lshl_b64 s[0:1], s[10:11], 3
	s_add_u32 s0, s2, s0
	s_addc_u32 s1, s3, s1
	s_load_dwordx2 s[2:3], s[0:1], 0x0
	s_load_dwordx2 s[6:7], s[4:5], 0x20
	v_and_b32_e32 v5, 1, v9
	v_mov_b32_e32 v6, 0x7e1
	v_cmp_eq_u32_e32 vcc, 1, v5
	s_waitcnt lgkmcnt(0)
	v_mul_lo_u32 v3, s2, v8
	v_mul_lo_u32 v4, s3, v7
	v_mad_u64_u32 v[1:2], s[0:1], s2, v7, v[1:2]
	s_mov_b32 s0, 0x2492493
	v_cndmask_b32_e32 v91, 0, v6, vcc
	v_add3_u32 v2, v4, v2, v3
	v_mul_hi_u32 v3, v0, s0
	v_cmp_gt_u64_e64 s[0:1], s[6:7], v[7:8]
	v_lshlrev_b64 v[86:87], 4, v[1:2]
	v_lshlrev_b32_e32 v18, 4, v91
	v_mul_u32_u24_e32 v3, 0x70, v3
	v_sub_u32_e32 v84, v0, v3
	s_and_saveexec_b64 s[2:3], s[0:1]
	s_cbranch_execz .LBB0_13
; %bb.10:
	v_mov_b32_e32 v85, 0
	v_mov_b32_e32 v0, s13
	v_add_co_u32_e32 v1, vcc, s12, v86
	v_lshlrev_b64 v[2:3], 4, v[84:85]
	v_addc_co_u32_e32 v0, vcc, v0, v87, vcc
	v_add_co_u32_e32 v15, vcc, v1, v2
	v_addc_co_u32_e32 v16, vcc, v0, v3, vcc
	s_movk_i32 s4, 0x1000
	v_add_co_u32_e32 v31, vcc, s4, v15
	v_addc_co_u32_e32 v32, vcc, 0, v16, vcc
	s_movk_i32 s4, 0x2000
	;; [unrolled: 3-line block ×3, first 2 shown]
	v_add_co_u32_e32 v47, vcc, s4, v15
	global_load_dwordx4 v[3:6], v[15:16], off
	global_load_dwordx4 v[7:10], v[15:16], off offset:1792
	global_load_dwordx4 v[11:14], v[15:16], off offset:3584
	;; [unrolled: 1-line block ×5, first 2 shown]
	v_addc_co_u32_e32 v48, vcc, 0, v16, vcc
	global_load_dwordx4 v[31:34], v[39:40], off offset:2560
	global_load_dwordx4 v[35:38], v[47:48], off offset:256
	v_or_b32_e32 v39, 0x380, v84
	v_mov_b32_e32 v40, v85
	v_lshlrev_b64 v[39:40], 4, v[39:40]
	s_movk_i32 s4, 0x4000
	v_add_co_u32_e32 v49, vcc, v1, v39
	v_addc_co_u32_e32 v50, vcc, v0, v40, vcc
	v_add_co_u32_e32 v55, vcc, s4, v15
	v_addc_co_u32_e32 v56, vcc, 0, v16, vcc
	s_movk_i32 s4, 0x5000
	v_add_co_u32_e32 v63, vcc, s4, v15
	v_addc_co_u32_e32 v64, vcc, 0, v16, vcc
	global_load_dwordx4 v[39:42], v[49:50], off
	global_load_dwordx4 v[43:46], v[47:48], off offset:3840
	s_nop 0
	global_load_dwordx4 v[47:50], v[55:56], off offset:1536
	global_load_dwordx4 v[51:54], v[55:56], off offset:3328
	s_movk_i32 s4, 0x6000
	global_load_dwordx4 v[55:58], v[63:64], off offset:1024
	global_load_dwordx4 v[59:62], v[63:64], off offset:2816
	v_or_b32_e32 v63, 0x700, v84
	v_mov_b32_e32 v64, v85
	v_add_co_u32_e32 v71, vcc, s4, v15
	v_lshlrev_b64 v[73:74], 4, v[63:64]
	v_addc_co_u32_e32 v72, vcc, 0, v16, vcc
	v_add_co_u32_e32 v79, vcc, v1, v73
	v_addc_co_u32_e32 v80, vcc, v0, v74, vcc
	v_add_co_u32_e32 v15, vcc, 0x7000, v15
	global_load_dwordx4 v[63:66], v[71:72], off offset:512
	global_load_dwordx4 v[67:70], v[71:72], off offset:2304
	v_addc_co_u32_e32 v16, vcc, 0, v16, vcc
	global_load_dwordx4 v[71:74], v[79:80], off
	global_load_dwordx4 v[75:78], v[15:16], off offset:1792
	v_lshlrev_b32_e32 v2, 4, v84
	s_movk_i32 s4, 0x6f
	v_add3_u32 v2, 0, v18, v2
	v_cmp_eq_u32_e32 vcc, s4, v84
	s_waitcnt vmcnt(17)
	ds_write_b128 v2, v[3:6]
	s_waitcnt vmcnt(16)
	ds_write_b128 v2, v[7:10] offset:1792
	s_waitcnt vmcnt(15)
	ds_write_b128 v2, v[11:14] offset:3584
	;; [unrolled: 2-line block ×17, first 2 shown]
	s_and_saveexec_b64 s[4:5], vcc
	s_cbranch_execz .LBB0_12
; %bb.11:
	v_add_co_u32_e32 v3, vcc, 0x7000, v1
	v_addc_co_u32_e32 v4, vcc, 0, v0, vcc
	global_load_dwordx4 v[3:6], v[3:4], off offset:3584
	v_mov_b32_e32 v84, 0x6f
	s_waitcnt vmcnt(0)
	ds_write_b128 v2, v[3:6] offset:30480
.LBB0_12:
	s_or_b64 exec, exec, s[4:5]
.LBB0_13:
	s_or_b64 exec, exec, s[2:3]
	v_lshl_add_u32 v90, v91, 4, 0
	v_lshlrev_b32_e32 v0, 4, v84
	v_add_u32_e32 v19, v90, v0
	s_waitcnt lgkmcnt(0)
	s_barrier
	v_sub_u32_e32 v21, v90, v0
	ds_read_b64 v[6:7], v19
	ds_read_b64 v[8:9], v21 offset:32256
	s_add_u32 s4, s8, 0x7de0
	s_addc_u32 s5, s9, 0
	v_cmp_ne_u32_e32 vcc, 0, v84
                                        ; implicit-def: $vgpr4_vgpr5
	s_waitcnt lgkmcnt(0)
	v_add_f64 v[0:1], v[6:7], v[8:9]
	v_add_f64 v[2:3], v[6:7], -v[8:9]
	s_and_saveexec_b64 s[2:3], vcc
	s_xor_b64 s[2:3], exec, s[2:3]
	s_cbranch_execz .LBB0_15
; %bb.14:
	v_mov_b32_e32 v85, 0
	v_lshlrev_b64 v[0:1], 4, v[84:85]
	v_mov_b32_e32 v2, s5
	v_add_co_u32_e32 v0, vcc, s4, v0
	v_addc_co_u32_e32 v1, vcc, v2, v1, vcc
	global_load_dwordx4 v[2:5], v[0:1], off
	ds_read_b64 v[0:1], v21 offset:32264
	ds_read_b64 v[10:11], v19 offset:8
	v_add_f64 v[12:13], v[6:7], v[8:9]
	v_add_f64 v[8:9], v[6:7], -v[8:9]
	s_waitcnt lgkmcnt(0)
	v_add_f64 v[14:15], v[0:1], v[10:11]
	v_add_f64 v[0:1], v[10:11], -v[0:1]
	s_waitcnt vmcnt(0)
	v_fma_f64 v[6:7], -v[8:9], v[4:5], v[12:13]
	v_fma_f64 v[10:11], v[14:15], v[4:5], -v[0:1]
	v_fma_f64 v[12:13], v[8:9], v[4:5], v[12:13]
	v_fma_f64 v[16:17], v[14:15], v[4:5], v[0:1]
	;; [unrolled: 1-line block ×4, first 2 shown]
	v_fma_f64 v[0:1], -v[14:15], v[2:3], v[12:13]
	v_fma_f64 v[2:3], v[8:9], v[2:3], v[16:17]
	ds_write_b128 v21, v[4:7] offset:32256
	v_mov_b32_e32 v4, v84
	v_mov_b32_e32 v5, v85
.LBB0_15:
	s_andn2_saveexec_b64 s[2:3], s[2:3]
	s_cbranch_execz .LBB0_17
; %bb.16:
	ds_read_b128 v[4:7], v90 offset:16128
	s_waitcnt lgkmcnt(0)
	v_add_f64 v[8:9], v[4:5], v[4:5]
	v_mul_f64 v[10:11], v[6:7], -2.0
	v_mov_b32_e32 v4, 0
	v_mov_b32_e32 v5, 0
	ds_write_b128 v90, v[8:11] offset:16128
.LBB0_17:
	s_or_b64 exec, exec, s[2:3]
	v_lshlrev_b64 v[4:5], 4, v[4:5]
	v_mov_b32_e32 v6, s5
	v_add_co_u32_e32 v16, vcc, s4, v4
	v_addc_co_u32_e32 v17, vcc, v6, v5, vcc
	global_load_dwordx4 v[4:7], v[16:17], off offset:1792
	global_load_dwordx4 v[8:11], v[16:17], off offset:3584
	s_movk_i32 s6, 0x1000
	v_add_co_u32_e32 v26, vcc, s6, v16
	ds_write_b128 v19, v[0:3]
	v_addc_co_u32_e32 v27, vcc, 0, v17, vcc
	ds_read_b128 v[0:3], v19 offset:1792
	ds_read_b128 v[12:15], v21 offset:30464
	global_load_dwordx4 v[22:25], v[26:27], off offset:1280
	s_movk_i32 s2, 0x2000
	s_movk_i32 s7, 0x3000
	v_or_b32_e32 v88, 0x380, v84
	s_waitcnt lgkmcnt(0)
	v_add_f64 v[28:29], v[0:1], v[12:13]
	v_add_f64 v[30:31], v[14:15], v[2:3]
	v_add_f64 v[32:33], v[0:1], -v[12:13]
	v_add_f64 v[0:1], v[2:3], -v[14:15]
	v_mov_b32_e32 v89, 0
	v_mov_b32_e32 v20, s5
	v_add_u32_e32 v92, 0xe0, v84
	v_lshl_add_u32 v93, v84, 4, 0
	v_lshlrev_b32_e32 v35, 5, v88
	v_add_u32_e32 v85, v93, v18
	v_add3_u32 v100, 0, v35, v18
	s_movk_i32 s3, 0x1fc
	s_movk_i32 s5, 0x7fc
	;; [unrolled: 1-line block ×3, first 2 shown]
	s_waitcnt vmcnt(2)
	v_fma_f64 v[2:3], v[32:33], v[6:7], v[28:29]
	v_fma_f64 v[12:13], v[30:31], v[6:7], v[0:1]
	v_fma_f64 v[14:15], -v[32:33], v[6:7], v[28:29]
	v_fma_f64 v[6:7], v[30:31], v[6:7], -v[0:1]
	v_fma_f64 v[0:1], -v[30:31], v[4:5], v[2:3]
	v_fma_f64 v[2:3], v[32:33], v[4:5], v[12:13]
	v_fma_f64 v[12:13], v[30:31], v[4:5], v[14:15]
	;; [unrolled: 1-line block ×3, first 2 shown]
	ds_write_b128 v19, v[0:3] offset:1792
	ds_write_b128 v21, v[12:15] offset:30464
	ds_read_b128 v[0:3], v19 offset:3584
	ds_read_b128 v[4:7], v21 offset:28672
	global_load_dwordx4 v[12:15], v[26:27], off offset:3072
	s_waitcnt lgkmcnt(0)
	v_add_f64 v[26:27], v[0:1], v[4:5]
	v_add_f64 v[28:29], v[6:7], v[2:3]
	v_add_f64 v[30:31], v[0:1], -v[4:5]
	v_add_f64 v[0:1], v[2:3], -v[6:7]
	s_waitcnt vmcnt(2)
	v_fma_f64 v[2:3], v[30:31], v[10:11], v[26:27]
	v_fma_f64 v[4:5], v[28:29], v[10:11], v[0:1]
	v_fma_f64 v[6:7], -v[30:31], v[10:11], v[26:27]
	v_fma_f64 v[10:11], v[28:29], v[10:11], -v[0:1]
	v_add_co_u32_e32 v26, vcc, s2, v16
	v_addc_co_u32_e32 v27, vcc, 0, v17, vcc
	v_fma_f64 v[0:1], -v[28:29], v[8:9], v[2:3]
	v_fma_f64 v[2:3], v[30:31], v[8:9], v[4:5]
	v_fma_f64 v[4:5], v[28:29], v[8:9], v[6:7]
	;; [unrolled: 1-line block ×3, first 2 shown]
	ds_write_b128 v19, v[0:3] offset:3584
	ds_write_b128 v21, v[4:7] offset:28672
	ds_read_b128 v[0:3], v19 offset:5376
	ds_read_b128 v[4:7], v21 offset:26880
	global_load_dwordx4 v[8:11], v[26:27], off offset:768
	s_movk_i32 s2, 0xfc
	s_waitcnt lgkmcnt(0)
	v_add_f64 v[28:29], v[0:1], v[4:5]
	v_add_f64 v[30:31], v[6:7], v[2:3]
	v_add_f64 v[32:33], v[0:1], -v[4:5]
	v_add_f64 v[0:1], v[2:3], -v[6:7]
	s_waitcnt vmcnt(2)
	v_fma_f64 v[2:3], v[32:33], v[24:25], v[28:29]
	v_fma_f64 v[4:5], v[30:31], v[24:25], v[0:1]
	v_fma_f64 v[6:7], -v[32:33], v[24:25], v[28:29]
	v_fma_f64 v[24:25], v[30:31], v[24:25], -v[0:1]
	v_fma_f64 v[0:1], -v[30:31], v[22:23], v[2:3]
	v_fma_f64 v[2:3], v[32:33], v[22:23], v[4:5]
	v_fma_f64 v[4:5], v[30:31], v[22:23], v[6:7]
	;; [unrolled: 1-line block ×3, first 2 shown]
	ds_write_b128 v19, v[0:3] offset:5376
	ds_write_b128 v21, v[4:7] offset:26880
	ds_read_b128 v[0:3], v19 offset:7168
	ds_read_b128 v[4:7], v21 offset:25088
	global_load_dwordx4 v[22:25], v[26:27], off offset:2560
	s_waitcnt lgkmcnt(0)
	v_add_f64 v[28:29], v[0:1], v[4:5]
	v_add_f64 v[30:31], v[6:7], v[2:3]
	v_add_f64 v[32:33], v[0:1], -v[4:5]
	v_add_f64 v[0:1], v[2:3], -v[6:7]
	s_waitcnt vmcnt(2)
	v_fma_f64 v[2:3], v[32:33], v[14:15], v[28:29]
	v_fma_f64 v[4:5], v[30:31], v[14:15], v[0:1]
	v_fma_f64 v[6:7], -v[32:33], v[14:15], v[28:29]
	v_fma_f64 v[14:15], v[30:31], v[14:15], -v[0:1]
	v_fma_f64 v[0:1], -v[30:31], v[12:13], v[2:3]
	v_fma_f64 v[2:3], v[32:33], v[12:13], v[4:5]
	v_fma_f64 v[4:5], v[30:31], v[12:13], v[6:7]
	;; [unrolled: 1-line block ×3, first 2 shown]
	ds_write_b128 v19, v[0:3] offset:7168
	ds_write_b128 v21, v[4:7] offset:25088
	v_add_co_u32_e32 v4, vcc, s7, v16
	ds_read_b128 v[0:3], v19 offset:8960
	ds_read_b128 v[12:15], v21 offset:23296
	v_addc_co_u32_e32 v5, vcc, 0, v17, vcc
	global_load_dwordx4 v[4:7], v[4:5], off offset:256
	s_waitcnt lgkmcnt(0)
	v_add_f64 v[16:17], v[0:1], v[12:13]
	v_add_f64 v[26:27], v[14:15], v[2:3]
	v_add_f64 v[12:13], v[0:1], -v[12:13]
	v_add_f64 v[0:1], v[2:3], -v[14:15]
	s_waitcnt vmcnt(2)
	v_fma_f64 v[2:3], v[12:13], v[10:11], v[16:17]
	v_fma_f64 v[14:15], v[26:27], v[10:11], v[0:1]
	v_fma_f64 v[16:17], -v[12:13], v[10:11], v[16:17]
	v_fma_f64 v[28:29], v[26:27], v[10:11], -v[0:1]
	v_fma_f64 v[0:1], -v[26:27], v[8:9], v[2:3]
	v_fma_f64 v[2:3], v[12:13], v[8:9], v[14:15]
	v_fma_f64 v[10:11], v[26:27], v[8:9], v[16:17]
	;; [unrolled: 1-line block ×3, first 2 shown]
	v_lshlrev_b64 v[16:17], 4, v[88:89]
	ds_write_b128 v19, v[0:3] offset:8960
	ds_write_b128 v21, v[10:13] offset:23296
	v_add_co_u32_e32 v0, vcc, s4, v16
	v_addc_co_u32_e32 v1, vcc, v20, v17, vcc
	ds_read_b128 v[8:11], v19 offset:10752
	ds_read_b128 v[12:15], v21 offset:21504
	global_load_dwordx4 v[0:3], v[0:1], off
	v_add_u32_e32 v20, 0x70, v84
	s_movk_i32 s4, 0x3fc
	s_waitcnt lgkmcnt(0)
	v_add_f64 v[16:17], v[8:9], v[12:13]
	v_add_f64 v[26:27], v[14:15], v[10:11]
	v_add_f64 v[28:29], v[8:9], -v[12:13]
	v_add_f64 v[8:9], v[10:11], -v[14:15]
	s_waitcnt vmcnt(2)
	v_fma_f64 v[10:11], v[28:29], v[24:25], v[16:17]
	v_fma_f64 v[12:13], v[26:27], v[24:25], v[8:9]
	v_fma_f64 v[14:15], -v[28:29], v[24:25], v[16:17]
	v_fma_f64 v[16:17], v[26:27], v[24:25], -v[8:9]
	v_fma_f64 v[8:9], -v[26:27], v[22:23], v[10:11]
	v_fma_f64 v[10:11], v[28:29], v[22:23], v[12:13]
	v_fma_f64 v[12:13], v[26:27], v[22:23], v[14:15]
	;; [unrolled: 1-line block ×3, first 2 shown]
	ds_write_b128 v19, v[8:11] offset:10752
	ds_write_b128 v21, v[12:15] offset:21504
	ds_read_b128 v[10:13], v19 offset:12544
	ds_read_b128 v[14:17], v21 offset:19712
	v_lshlrev_b32_e32 v26, 5, v84
	s_waitcnt lgkmcnt(0)
	v_add_f64 v[22:23], v[10:11], v[14:15]
	v_add_f64 v[8:9], v[16:17], v[12:13]
	v_add_f64 v[10:11], v[10:11], -v[14:15]
	v_add_f64 v[24:25], v[12:13], -v[16:17]
	s_waitcnt vmcnt(1)
	v_fma_f64 v[12:13], v[10:11], v[6:7], v[22:23]
	v_fma_f64 v[14:15], v[8:9], v[6:7], v[24:25]
	v_fma_f64 v[16:17], -v[10:11], v[6:7], v[22:23]
	v_fma_f64 v[6:7], v[8:9], v[6:7], -v[24:25]
	v_fma_f64 v[12:13], -v[8:9], v[4:5], v[12:13]
	v_fma_f64 v[14:15], v[10:11], v[4:5], v[14:15]
	v_fma_f64 v[22:23], v[8:9], v[4:5], v[16:17]
	;; [unrolled: 1-line block ×3, first 2 shown]
	ds_write_b128 v19, v[12:15] offset:12544
	ds_write_b128 v21, v[22:25] offset:19712
	ds_read_b128 v[10:13], v19 offset:14336
	ds_read_b128 v[22:25], v21 offset:17920
	v_add3_u32 v7, 0, v26, v18
	v_add_u32_e32 v6, 0x150, v84
	v_add_u32_e32 v5, 0x1c0, v84
	;; [unrolled: 1-line block ×3, first 2 shown]
	s_waitcnt lgkmcnt(0)
	v_add_f64 v[14:15], v[10:11], v[22:23]
	v_add_f64 v[26:27], v[24:25], v[12:13]
	v_add_f64 v[28:29], v[10:11], -v[22:23]
	v_add_f64 v[10:11], v[12:13], -v[24:25]
	v_lshlrev_b32_e32 v24, 5, v92
	v_add3_u32 v82, 0, v24, v18
	v_add_u32_e32 v8, 0x2a0, v84
	v_add_u32_e32 v9, 0x310, v84
	v_lshlrev_b32_e32 v30, 5, v6
	v_lshlrev_b32_e32 v31, 5, v5
	s_waitcnt vmcnt(0)
	v_fma_f64 v[12:13], v[28:29], v[2:3], v[14:15]
	v_fma_f64 v[22:23], v[26:27], v[2:3], v[10:11]
	v_fma_f64 v[14:15], -v[28:29], v[2:3], v[14:15]
	v_fma_f64 v[2:3], v[26:27], v[2:3], -v[10:11]
	v_lshlrev_b32_e32 v32, 5, v4
	v_lshlrev_b32_e32 v33, 5, v8
	;; [unrolled: 1-line block ×3, first 2 shown]
	v_add3_u32 v83, 0, v32, v18
	v_fma_f64 v[10:11], -v[26:27], v[0:1], v[12:13]
	v_fma_f64 v[12:13], v[28:29], v[0:1], v[22:23]
	v_fma_f64 v[22:23], v[26:27], v[0:1], v[14:15]
	;; [unrolled: 1-line block ×3, first 2 shown]
	v_add3_u32 v14, 0, v30, v18
	v_add3_u32 v15, 0, v31, v18
	;; [unrolled: 1-line block ×4, first 2 shown]
	ds_write_b128 v19, v[10:13] offset:14336
	ds_write_b128 v21, v[22:25] offset:17920
	s_waitcnt lgkmcnt(0)
	s_barrier
	s_barrier
	ds_read_b128 v[0:3], v19
	ds_read_b128 v[10:13], v85 offset:1792
	ds_read_b128 v[21:24], v85 offset:17920
	;; [unrolled: 1-line block ×17, first 2 shown]
	s_waitcnt lgkmcnt(14)
	v_add_f64 v[21:22], v[10:11], -v[21:22]
	s_waitcnt lgkmcnt(3)
	v_add_f64 v[69:70], v[0:1], -v[69:70]
	v_add_f64 v[71:72], v[2:3], -v[71:72]
	;; [unrolled: 1-line block ×13, first 2 shown]
	s_waitcnt lgkmcnt(1)
	v_add_f64 v[77:78], v[65:66], -v[77:78]
	v_add_f64 v[79:80], v[67:68], -v[79:80]
	s_waitcnt lgkmcnt(0)
	v_add_f64 v[94:95], v[73:74], -v[94:95]
	v_add_f64 v[96:97], v[75:76], -v[96:97]
	v_lshlrev_b32_e32 v17, 5, v20
	v_fma_f64 v[0:1], v[0:1], 2.0, -v[69:70]
	v_fma_f64 v[2:3], v[2:3], 2.0, -v[71:72]
	v_add3_u32 v17, 0, v17, v18
	v_fma_f64 v[10:11], v[10:11], 2.0, -v[21:22]
	v_fma_f64 v[12:13], v[12:13], 2.0, -v[23:24]
	s_barrier
	ds_write_b128 v17, v[21:24] offset:16
	v_fma_f64 v[21:22], v[29:30], 2.0, -v[25:26]
	v_fma_f64 v[23:24], v[31:32], 2.0, -v[27:28]
	ds_write_b128 v82, v[25:28] offset:16
	v_fma_f64 v[25:26], v[33:34], 2.0, -v[37:38]
	v_fma_f64 v[27:28], v[35:36], 2.0, -v[39:40]
	;; [unrolled: 1-line block ×4, first 2 shown]
	v_and_b32_e32 v16, 1, v84
	v_fma_f64 v[33:34], v[49:50], 2.0, -v[53:54]
	v_fma_f64 v[35:36], v[51:52], 2.0, -v[55:56]
	v_lshlrev_b32_e32 v81, 4, v16
	ds_write_b128 v14, v[37:40] offset:16
	v_fma_f64 v[37:38], v[61:62], 2.0, -v[57:58]
	v_fma_f64 v[39:40], v[63:64], 2.0, -v[59:60]
	ds_write_b128 v7, v[69:72] offset:16
	ds_write_b128 v15, v[41:44] offset:16
	;; [unrolled: 1-line block ×4, first 2 shown]
	v_fma_f64 v[41:42], v[65:66], 2.0, -v[77:78]
	v_fma_f64 v[43:44], v[67:68], 2.0, -v[79:80]
	ds_write_b128 v99, v[77:80] offset:16
	v_fma_f64 v[45:46], v[73:74], 2.0, -v[94:95]
	v_fma_f64 v[47:48], v[75:76], 2.0, -v[96:97]
	ds_write_b128 v100, v[94:97] offset:16
	ds_write_b128 v7, v[0:3]
	ds_write_b128 v17, v[10:13]
	;; [unrolled: 1-line block ×9, first 2 shown]
	s_waitcnt lgkmcnt(0)
	s_barrier
	global_load_dwordx4 v[0:3], v81, s[8:9]
	v_lshlrev_b32_e32 v7, 1, v84
	v_and_or_b32 v21, v7, s2, v16
	v_lshlrev_b32_e32 v15, 1, v20
	v_lshlrev_b32_e32 v14, 1, v92
	;; [unrolled: 1-line block ×8, first 2 shown]
	v_and_or_b32 v22, v15, s3, v16
	v_and_or_b32 v23, v14, s4, v16
	;; [unrolled: 1-line block ×7, first 2 shown]
	v_lshlrev_b32_e32 v8, 1, v88
	v_add3_u32 v88, 0, v21, v18
	v_lshlrev_b32_e32 v21, 4, v22
	v_lshlrev_b32_e32 v22, 4, v23
	;; [unrolled: 1-line block ×7, first 2 shown]
	v_add3_u32 v118, 0, v21, v18
	v_add3_u32 v119, 0, v22, v18
	;; [unrolled: 1-line block ×7, first 2 shown]
	ds_read_b128 v[21:24], v85 offset:17920
	ds_read_b128 v[25:28], v85 offset:19712
	;; [unrolled: 1-line block ×10, first 2 shown]
	ds_read_b128 v[61:64], v19
	ds_read_b128 v[65:68], v85 offset:1792
	ds_read_b128 v[69:72], v85 offset:3584
	;; [unrolled: 1-line block ×7, first 2 shown]
	s_waitcnt vmcnt(0) lgkmcnt(0)
	s_barrier
	v_and_b32_e32 v17, 3, v84
	v_and_or_b32 v16, v8, s5, v16
	v_lshlrev_b32_e32 v83, 4, v17
	v_lshlrev_b32_e32 v16, 4, v16
	v_add3_u32 v16, 0, v16, v18
	s_movk_i32 s3, 0x1f8
	s_movk_i32 s4, 0x3f8
	;; [unrolled: 1-line block ×5, first 2 shown]
	v_mul_f64 v[81:82], v[55:56], v[2:3]
	v_mul_f64 v[106:107], v[53:54], v[2:3]
	;; [unrolled: 1-line block ×7, first 2 shown]
	v_fma_f64 v[53:54], v[53:54], v[0:1], -v[81:82]
	v_fma_f64 v[55:56], v[55:56], v[0:1], v[106:107]
	v_mul_f64 v[81:82], v[29:30], v[2:3]
	v_mul_f64 v[106:107], v[35:36], v[2:3]
	v_fma_f64 v[21:22], v[21:22], v[0:1], -v[108:109]
	v_mul_f64 v[108:109], v[33:34], v[2:3]
	v_fma_f64 v[23:24], v[23:24], v[0:1], v[110:111]
	v_mul_f64 v[110:111], v[39:40], v[2:3]
	v_fma_f64 v[25:26], v[25:26], v[0:1], -v[112:113]
	v_fma_f64 v[27:28], v[27:28], v[0:1], v[114:115]
	v_mul_f64 v[112:113], v[37:38], v[2:3]
	v_mul_f64 v[114:115], v[43:44], v[2:3]
	v_fma_f64 v[29:30], v[29:30], v[0:1], -v[116:117]
	v_fma_f64 v[31:32], v[31:32], v[0:1], v[81:82]
	v_mul_f64 v[81:82], v[41:42], v[2:3]
	;; [unrolled: 4-line block ×3, first 2 shown]
	v_mul_f64 v[108:109], v[51:52], v[2:3]
	v_mul_f64 v[2:3], v[49:50], v[2:3]
	v_fma_f64 v[37:38], v[37:38], v[0:1], -v[110:111]
	v_fma_f64 v[39:40], v[39:40], v[0:1], v[112:113]
	v_fma_f64 v[41:42], v[41:42], v[0:1], -v[114:115]
	v_fma_f64 v[43:44], v[43:44], v[0:1], v[81:82]
	;; [unrolled: 2-line block ×4, first 2 shown]
	v_add_f64 v[0:1], v[61:62], -v[53:54]
	v_add_f64 v[2:3], v[63:64], -v[55:56]
	;; [unrolled: 1-line block ×18, first 2 shown]
	v_fma_f64 v[53:54], v[61:62], 2.0, -v[0:1]
	v_fma_f64 v[55:56], v[63:64], 2.0, -v[2:3]
	ds_write_b128 v88, v[0:3] offset:32
	v_fma_f64 v[0:1], v[65:66], 2.0, -v[21:22]
	v_fma_f64 v[2:3], v[67:68], 2.0, -v[23:24]
	;; [unrolled: 1-line block ×16, first 2 shown]
	ds_write_b128 v88, v[53:56]
	ds_write_b128 v118, v[0:3]
	ds_write_b128 v118, v[21:24] offset:32
	ds_write_b128 v119, v[61:64]
	ds_write_b128 v119, v[25:28] offset:32
	;; [unrolled: 2-line block ×8, first 2 shown]
	s_waitcnt lgkmcnt(0)
	s_barrier
	global_load_dwordx4 v[0:3], v83, s[8:9] offset:32
	v_and_or_b32 v21, v15, s3, v17
	v_and_or_b32 v22, v14, s4, v17
	;; [unrolled: 1-line block ×5, first 2 shown]
	v_lshlrev_b32_e32 v21, 4, v21
	v_lshlrev_b32_e32 v22, 4, v22
	;; [unrolled: 1-line block ×5, first 2 shown]
	v_add3_u32 v83, 0, v21, v18
	v_add3_u32 v88, 0, v22, v18
	;; [unrolled: 1-line block ×5, first 2 shown]
	ds_read_b128 v[21:24], v85 offset:17920
	ds_read_b128 v[25:28], v85 offset:19712
	;; [unrolled: 1-line block ×10, first 2 shown]
	ds_read_b128 v[61:64], v19
	ds_read_b128 v[65:68], v85 offset:1792
	ds_read_b128 v[69:72], v85 offset:3584
	;; [unrolled: 1-line block ×7, first 2 shown]
	v_and_or_b32 v16, v7, s2, v17
	v_lshlrev_b32_e32 v16, 4, v16
	v_add3_u32 v16, 0, v16, v18
	s_waitcnt vmcnt(0) lgkmcnt(0)
	s_barrier
	s_movk_i32 s2, 0xf0
	s_movk_i32 s3, 0x1f0
	;; [unrolled: 1-line block ×3, first 2 shown]
	v_cmp_gt_u32_e32 vcc, s10, v84
	s_movk_i32 s10, 0xab
	v_mul_f64 v[81:82], v[55:56], v[2:3]
	v_mul_f64 v[106:107], v[53:54], v[2:3]
	;; [unrolled: 1-line block ×9, first 2 shown]
	v_fma_f64 v[53:54], v[53:54], v[0:1], -v[81:82]
	v_mul_f64 v[81:82], v[33:34], v[2:3]
	v_fma_f64 v[55:56], v[55:56], v[0:1], v[106:107]
	v_mul_f64 v[106:107], v[39:40], v[2:3]
	v_fma_f64 v[21:22], v[21:22], v[0:1], -v[108:109]
	v_fma_f64 v[23:24], v[23:24], v[0:1], v[110:111]
	v_mul_f64 v[108:109], v[37:38], v[2:3]
	v_mul_f64 v[110:111], v[43:44], v[2:3]
	v_fma_f64 v[25:26], v[25:26], v[0:1], -v[112:113]
	v_fma_f64 v[27:28], v[27:28], v[0:1], v[114:115]
	v_mul_f64 v[112:113], v[41:42], v[2:3]
	;; [unrolled: 4-line block ×3, first 2 shown]
	v_mul_f64 v[118:119], v[51:52], v[2:3]
	v_mul_f64 v[2:3], v[49:50], v[2:3]
	v_fma_f64 v[33:34], v[33:34], v[0:1], -v[120:121]
	v_fma_f64 v[35:36], v[35:36], v[0:1], v[81:82]
	v_fma_f64 v[37:38], v[37:38], v[0:1], -v[106:107]
	v_fma_f64 v[39:40], v[39:40], v[0:1], v[108:109]
	;; [unrolled: 2-line block ×5, first 2 shown]
	v_add_f64 v[0:1], v[61:62], -v[53:54]
	v_add_f64 v[2:3], v[63:64], -v[55:56]
	;; [unrolled: 1-line block ×12, first 2 shown]
	v_fma_f64 v[45:46], v[61:62], 2.0, -v[0:1]
	v_fma_f64 v[47:48], v[63:64], 2.0, -v[2:3]
	ds_write_b128 v16, v[0:3] offset:64
	v_fma_f64 v[0:1], v[65:66], 2.0, -v[21:22]
	v_fma_f64 v[2:3], v[67:68], 2.0, -v[23:24]
	v_add_f64 v[41:42], v[98:99], -v[41:42]
	v_add_f64 v[43:44], v[100:101], -v[43:44]
	v_fma_f64 v[49:50], v[69:70], 2.0, -v[25:26]
	v_fma_f64 v[51:52], v[71:72], 2.0, -v[27:28]
	;; [unrolled: 1-line block ×8, first 2 shown]
	ds_write_b128 v16, v[45:48]
	ds_write_b128 v83, v[0:3]
	ds_write_b128 v83, v[21:24] offset:64
	ds_write_b128 v88, v[49:52]
	ds_write_b128 v88, v[25:28] offset:64
	;; [unrolled: 2-line block ×5, first 2 shown]
	v_add_f64 v[21:22], v[102:103], -v[81:82]
	v_add_f64 v[23:24], v[104:105], -v[106:107]
	v_fma_f64 v[0:1], v[98:99], 2.0, -v[41:42]
	v_fma_f64 v[2:3], v[100:101], 2.0, -v[43:44]
	v_add_f64 v[25:26], v[57:58], -v[108:109]
	v_add_f64 v[27:28], v[59:60], -v[110:111]
	v_and_or_b32 v16, v10, s5, v17
	v_lshlrev_b32_e32 v16, 4, v16
	v_fma_f64 v[29:30], v[102:103], 2.0, -v[21:22]
	v_fma_f64 v[31:32], v[104:105], 2.0, -v[23:24]
	v_add3_u32 v16, 0, v16, v18
	ds_write_b128 v16, v[0:3]
	ds_write_b128 v16, v[41:44] offset:64
	v_fma_f64 v[0:1], v[57:58], 2.0, -v[25:26]
	v_fma_f64 v[2:3], v[59:60], 2.0, -v[27:28]
	v_and_or_b32 v16, v9, s5, v17
	v_lshlrev_b32_e32 v16, 4, v16
	v_add3_u32 v16, 0, v16, v18
	ds_write_b128 v16, v[29:32]
	ds_write_b128 v16, v[21:24] offset:64
	v_and_or_b32 v16, v8, s5, v17
	v_lshlrev_b32_e32 v16, 4, v16
	v_add3_u32 v16, 0, v16, v18
	v_and_b32_e32 v83, 7, v84
	ds_write_b128 v16, v[0:3]
	ds_write_b128 v16, v[25:28] offset:64
	v_lshlrev_b32_e32 v0, 4, v83
	s_waitcnt lgkmcnt(0)
	s_barrier
	global_load_dwordx4 v[0:3], v0, s[8:9] offset:96
	v_and_or_b32 v16, v7, s2, v83
	v_lshlrev_b32_e32 v16, 4, v16
	v_and_or_b32 v17, v15, s3, v83
	v_add3_u32 v88, 0, v16, v18
	v_lshlrev_b32_e32 v16, 4, v17
	v_add3_u32 v132, 0, v16, v18
	ds_read_b128 v[21:24], v85 offset:17920
	ds_read_b128 v[25:28], v85 offset:19712
	;; [unrolled: 1-line block ×10, first 2 shown]
	ds_read_b128 v[61:64], v19
	ds_read_b128 v[65:68], v85 offset:1792
	ds_read_b128 v[69:72], v85 offset:3584
	;; [unrolled: 1-line block ×7, first 2 shown]
	s_waitcnt vmcnt(0) lgkmcnt(0)
	s_barrier
	s_movk_i32 s2, 0x3f0
	s_movk_i32 s3, 0x5f0
	s_mov_b32 s5, 0xbfebb67a
	v_mul_f64 v[16:17], v[55:56], v[2:3]
	v_mul_f64 v[81:82], v[53:54], v[2:3]
	;; [unrolled: 1-line block ×8, first 2 shown]
	v_fma_f64 v[16:17], v[53:54], v[0:1], -v[16:17]
	v_fma_f64 v[53:54], v[55:56], v[0:1], v[81:82]
	v_fma_f64 v[106:107], v[21:22], v[0:1], -v[106:107]
	v_fma_f64 v[108:109], v[23:24], v[0:1], v[108:109]
	v_mul_f64 v[118:119], v[35:36], v[2:3]
	v_mul_f64 v[120:121], v[33:34], v[2:3]
	;; [unrolled: 1-line block ×7, first 2 shown]
	v_fma_f64 v[110:111], v[25:26], v[0:1], -v[110:111]
	v_fma_f64 v[112:113], v[27:28], v[0:1], v[112:113]
	v_mul_f64 v[128:129], v[45:46], v[2:3]
	v_mul_f64 v[130:131], v[51:52], v[2:3]
	v_mul_f64 v[2:3], v[49:50], v[2:3]
	v_add_f64 v[21:22], v[61:62], -v[16:17]
	v_add_f64 v[23:24], v[63:64], -v[53:54]
	;; [unrolled: 1-line block ×4, first 2 shown]
	v_fma_f64 v[114:115], v[29:30], v[0:1], -v[114:115]
	v_fma_f64 v[116:117], v[31:32], v[0:1], v[116:117]
	v_fma_f64 v[118:119], v[33:34], v[0:1], -v[118:119]
	v_fma_f64 v[120:121], v[35:36], v[0:1], v[120:121]
	;; [unrolled: 2-line block ×6, first 2 shown]
	v_add_f64 v[0:1], v[69:70], -v[110:111]
	v_add_f64 v[2:3], v[71:72], -v[112:113]
	v_fma_f64 v[29:30], v[61:62], 2.0, -v[21:22]
	v_fma_f64 v[31:32], v[63:64], 2.0, -v[23:24]
	v_fma_f64 v[33:34], v[65:66], 2.0, -v[25:26]
	v_fma_f64 v[35:36], v[67:68], 2.0, -v[27:28]
	v_add_f64 v[37:38], v[73:74], -v[114:115]
	v_add_f64 v[39:40], v[75:76], -v[116:117]
	ds_write_b128 v88, v[21:24] offset:128
	ds_write_b128 v88, v[29:32]
	ds_write_b128 v132, v[33:36]
	ds_write_b128 v132, v[25:28] offset:128
	v_fma_f64 v[21:22], v[69:70], 2.0, -v[0:1]
	v_fma_f64 v[23:24], v[71:72], 2.0, -v[2:3]
	v_add_f64 v[29:30], v[77:78], -v[118:119]
	v_add_f64 v[31:32], v[79:80], -v[120:121]
	v_and_or_b32 v25, v14, s2, v83
	v_lshlrev_b32_e32 v25, 4, v25
	v_add3_u32 v33, 0, v25, v18
	v_fma_f64 v[25:26], v[73:74], 2.0, -v[37:38]
	v_fma_f64 v[27:28], v[75:76], 2.0, -v[39:40]
	ds_write_b128 v33, v[21:24]
	ds_write_b128 v33, v[0:3] offset:128
	v_and_or_b32 v0, v13, s2, v83
	v_lshlrev_b32_e32 v0, 4, v0
	v_add3_u32 v33, 0, v0, v18
	v_fma_f64 v[0:1], v[77:78], 2.0, -v[29:30]
	v_fma_f64 v[2:3], v[79:80], 2.0, -v[31:32]
	v_add_f64 v[21:22], v[94:95], -v[122:123]
	v_add_f64 v[23:24], v[96:97], -v[55:56]
	s_movk_i32 s2, 0x7f0
	ds_write_b128 v33, v[25:28]
	v_and_or_b32 v25, v12, s2, v83
	v_lshlrev_b32_e32 v25, 4, v25
	v_add3_u32 v25, 0, v25, v18
	ds_write_b128 v33, v[37:40] offset:128
	ds_write_b128 v25, v[0:3]
	v_fma_f64 v[0:1], v[94:95], 2.0, -v[21:22]
	v_fma_f64 v[2:3], v[96:97], 2.0, -v[23:24]
	ds_write_b128 v25, v[29:32] offset:128
	v_add_f64 v[25:26], v[98:99], -v[16:17]
	v_add_f64 v[27:28], v[100:101], -v[41:42]
	v_and_or_b32 v16, v11, s3, v83
	v_lshlrev_b32_e32 v16, 4, v16
	v_add3_u32 v16, 0, v16, v18
	ds_write_b128 v16, v[0:3]
	ds_write_b128 v16, v[21:24] offset:128
	v_add_f64 v[21:22], v[102:103], -v[43:44]
	v_add_f64 v[23:24], v[104:105], -v[45:46]
	v_fma_f64 v[0:1], v[98:99], 2.0, -v[25:26]
	v_fma_f64 v[2:3], v[100:101], 2.0, -v[27:28]
	v_add_f64 v[29:30], v[57:58], -v[47:48]
	v_add_f64 v[31:32], v[59:60], -v[49:50]
	v_and_or_b32 v16, v10, s2, v83
	v_lshlrev_b32_e32 v16, 4, v16
	v_fma_f64 v[33:34], v[102:103], 2.0, -v[21:22]
	v_fma_f64 v[35:36], v[104:105], 2.0, -v[23:24]
	v_add3_u32 v16, 0, v16, v18
	ds_write_b128 v16, v[0:3]
	ds_write_b128 v16, v[25:28] offset:128
	v_fma_f64 v[0:1], v[57:58], 2.0, -v[29:30]
	v_fma_f64 v[2:3], v[59:60], 2.0, -v[31:32]
	v_and_or_b32 v16, v9, s2, v83
	v_lshlrev_b32_e32 v16, 4, v16
	v_add3_u32 v16, 0, v16, v18
	ds_write_b128 v16, v[33:36]
	ds_write_b128 v16, v[21:24] offset:128
	v_and_or_b32 v16, v8, s2, v83
	v_lshlrev_b32_e32 v16, 4, v16
	v_add3_u32 v16, 0, v16, v18
	v_and_b32_e32 v83, 15, v84
	ds_write_b128 v16, v[0:3]
	ds_write_b128 v16, v[29:32] offset:128
	v_lshlrev_b32_e32 v0, 4, v83
	s_waitcnt lgkmcnt(0)
	s_barrier
	global_load_dwordx4 v[0:3], v0, s[8:9] offset:224
	ds_read_b128 v[21:24], v85 offset:16128
	ds_read_b128 v[25:28], v85 offset:17920
	;; [unrolled: 1-line block ×6, first 2 shown]
	s_movk_i32 s2, 0xe0
	v_and_or_b32 v7, v7, s2, v83
	v_lshlrev_b32_e32 v7, 4, v7
	v_add3_u32 v7, 0, v7, v18
	s_movk_i32 s2, 0x1e0
	s_movk_i32 s3, 0x5e0
	s_waitcnt vmcnt(0) lgkmcnt(5)
	v_mul_f64 v[16:17], v[23:24], v[2:3]
	v_mul_f64 v[45:46], v[21:22], v[2:3]
	s_waitcnt lgkmcnt(2)
	v_mul_f64 v[55:56], v[35:36], v[2:3]
	v_mul_f64 v[47:48], v[27:28], v[2:3]
	;; [unrolled: 1-line block ×6, first 2 shown]
	v_fma_f64 v[16:17], v[21:22], v[0:1], -v[16:17]
	v_fma_f64 v[59:60], v[23:24], v[0:1], v[45:46]
	v_fma_f64 v[69:70], v[33:34], v[0:1], -v[55:56]
	ds_read_b128 v[21:24], v85 offset:25088
	s_waitcnt lgkmcnt(2)
	v_mul_f64 v[33:34], v[39:40], v[2:3]
	v_mul_f64 v[45:46], v[37:38], v[2:3]
	v_fma_f64 v[61:62], v[25:26], v[0:1], -v[47:48]
	v_fma_f64 v[63:64], v[27:28], v[0:1], v[49:50]
	ds_read_b128 v[25:28], v85 offset:26880
	s_waitcnt lgkmcnt(1)
	v_mul_f64 v[47:48], v[23:24], v[2:3]
	v_mul_f64 v[49:50], v[21:22], v[2:3]
	v_fma_f64 v[65:66], v[29:30], v[0:1], -v[51:52]
	v_fma_f64 v[67:68], v[31:32], v[0:1], v[53:54]
	v_fma_f64 v[71:72], v[35:36], v[0:1], v[57:58]
	ds_read_b128 v[29:32], v85 offset:28672
	v_fma_f64 v[73:74], v[37:38], v[0:1], -v[33:34]
	ds_read_b128 v[33:36], v85 offset:30464
	v_fma_f64 v[75:76], v[39:40], v[0:1], v[45:46]
	ds_read_b128 v[37:40], v19
	s_waitcnt lgkmcnt(3)
	v_mul_f64 v[51:52], v[27:28], v[2:3]
	v_mul_f64 v[53:54], v[25:26], v[2:3]
	s_waitcnt lgkmcnt(2)
	v_mul_f64 v[55:56], v[31:32], v[2:3]
	v_mul_f64 v[57:58], v[29:30], v[2:3]
	v_fma_f64 v[77:78], v[21:22], v[0:1], -v[47:48]
	v_fma_f64 v[79:80], v[23:24], v[0:1], v[49:50]
	ds_read_b128 v[21:24], v85 offset:1792
	s_waitcnt lgkmcnt(2)
	v_mul_f64 v[49:50], v[35:36], v[2:3]
	v_mul_f64 v[2:3], v[33:34], v[2:3]
	s_waitcnt lgkmcnt(1)
	v_add_f64 v[45:46], v[37:38], -v[16:17]
	v_add_f64 v[47:48], v[39:40], -v[59:60]
	v_fma_f64 v[81:82], v[25:26], v[0:1], -v[51:52]
	v_fma_f64 v[94:95], v[27:28], v[0:1], v[53:54]
	v_fma_f64 v[96:97], v[29:30], v[0:1], -v[55:56]
	v_fma_f64 v[98:99], v[31:32], v[0:1], v[57:58]
	v_fma_f64 v[100:101], v[33:34], v[0:1], -v[49:50]
	v_fma_f64 v[102:103], v[35:36], v[0:1], v[2:3]
	v_fma_f64 v[0:1], v[37:38], 2.0, -v[45:46]
	v_fma_f64 v[2:3], v[39:40], 2.0, -v[47:48]
	s_waitcnt lgkmcnt(0)
	v_add_f64 v[57:58], v[21:22], -v[61:62]
	v_add_f64 v[59:60], v[23:24], -v[63:64]
	ds_read_b128 v[25:28], v85 offset:3584
	ds_read_b128 v[29:32], v85 offset:5376
	;; [unrolled: 1-line block ×6, first 2 shown]
	s_waitcnt lgkmcnt(0)
	s_barrier
	ds_write_b128 v7, v[45:48] offset:256
	ds_write_b128 v7, v[0:3]
	v_fma_f64 v[0:1], v[21:22], 2.0, -v[57:58]
	v_fma_f64 v[2:3], v[23:24], 2.0, -v[59:60]
	v_and_or_b32 v7, v15, s2, v83
	v_add_f64 v[21:22], v[25:26], -v[65:66]
	v_add_f64 v[23:24], v[27:28], -v[67:68]
	v_lshlrev_b32_e32 v7, 4, v7
	v_add3_u32 v7, 0, v7, v18
	ds_write_b128 v7, v[0:3]
	ds_write_b128 v7, v[57:60] offset:256
	v_add_f64 v[0:1], v[29:30], -v[69:70]
	v_add_f64 v[2:3], v[31:32], -v[71:72]
	v_fma_f64 v[25:26], v[25:26], 2.0, -v[21:22]
	v_fma_f64 v[27:28], v[27:28], 2.0, -v[23:24]
	s_movk_i32 s2, 0x3e0
	v_and_or_b32 v7, v14, s2, v83
	v_lshlrev_b32_e32 v7, 4, v7
	v_add3_u32 v7, 0, v7, v18
	v_fma_f64 v[14:15], v[29:30], 2.0, -v[0:1]
	v_fma_f64 v[16:17], v[31:32], 2.0, -v[2:3]
	v_add_f64 v[29:30], v[33:34], -v[73:74]
	v_add_f64 v[31:32], v[35:36], -v[75:76]
	ds_write_b128 v7, v[25:28]
	ds_write_b128 v7, v[21:24] offset:256
	v_and_or_b32 v7, v13, s2, v83
	v_add_f64 v[21:22], v[37:38], -v[77:78]
	v_add_f64 v[23:24], v[39:40], -v[79:80]
	v_lshlrev_b32_e32 v7, 4, v7
	v_add3_u32 v7, 0, v7, v18
	ds_write_b128 v7, v[14:17]
	v_fma_f64 v[13:14], v[33:34], 2.0, -v[29:30]
	v_fma_f64 v[15:16], v[35:36], 2.0, -v[31:32]
	s_movk_i32 s2, 0x7e0
	ds_write_b128 v7, v[0:3] offset:256
	v_and_or_b32 v0, v12, s2, v83
	v_lshlrev_b32_e32 v0, 4, v0
	v_add3_u32 v7, 0, v0, v18
	v_fma_f64 v[0:1], v[37:38], 2.0, -v[21:22]
	v_fma_f64 v[2:3], v[39:40], 2.0, -v[23:24]
	ds_write_b128 v7, v[13:16]
	v_add_f64 v[12:13], v[49:50], -v[81:82]
	v_add_f64 v[14:15], v[51:52], -v[94:95]
	ds_write_b128 v7, v[29:32] offset:256
	v_and_or_b32 v7, v11, s3, v83
	v_lshlrev_b32_e32 v7, 4, v7
	v_add3_u32 v7, 0, v7, v18
	ds_write_b128 v7, v[0:3]
	ds_write_b128 v7, v[21:24] offset:256
	v_add_f64 v[21:22], v[53:54], -v[96:97]
	v_add_f64 v[23:24], v[55:56], -v[98:99]
	v_fma_f64 v[0:1], v[49:50], 2.0, -v[12:13]
	v_fma_f64 v[2:3], v[51:52], 2.0, -v[14:15]
	v_add_f64 v[25:26], v[41:42], -v[100:101]
	v_add_f64 v[27:28], v[43:44], -v[102:103]
	v_and_or_b32 v7, v10, s2, v83
	v_lshlrev_b32_e32 v7, 4, v7
	v_fma_f64 v[29:30], v[53:54], 2.0, -v[21:22]
	v_fma_f64 v[31:32], v[55:56], 2.0, -v[23:24]
	v_add3_u32 v7, 0, v7, v18
	ds_write_b128 v7, v[0:3]
	ds_write_b128 v7, v[12:15] offset:256
	v_fma_f64 v[0:1], v[41:42], 2.0, -v[25:26]
	v_fma_f64 v[2:3], v[43:44], 2.0, -v[27:28]
	v_and_or_b32 v7, v9, s2, v83
	v_lshlrev_b32_e32 v7, 4, v7
	v_add3_u32 v7, 0, v7, v18
	ds_write_b128 v7, v[29:32]
	ds_write_b128 v7, v[21:24] offset:256
	v_and_or_b32 v7, v8, s2, v83
	v_lshlrev_b32_e32 v7, 4, v7
	v_add3_u32 v7, 0, v7, v18
	ds_write_b128 v7, v[0:3]
	ds_write_b128 v7, v[25:28] offset:256
	v_and_b32_e32 v2, 31, v6
	v_lshlrev_b32_e32 v0, 5, v2
	s_waitcnt lgkmcnt(0)
	s_barrier
	global_load_dwordx4 v[7:10], v0, s[8:9] offset:480
	global_load_dwordx4 v[11:14], v0, s[8:9] offset:496
	v_and_b32_e32 v1, 31, v84
	v_lshlrev_b32_e32 v0, 5, v1
	global_load_dwordx4 v[21:24], v0, s[8:9] offset:480
	global_load_dwordx4 v[25:28], v0, s[8:9] offset:496
	v_and_b32_e32 v0, 31, v4
	v_lshlrev_b32_e32 v3, 5, v0
	global_load_dwordx2 v[61:62], v3, s[8:9] offset:504
	global_load_dwordx4 v[29:32], v3, s[8:9] offset:496
	global_load_dwordx4 v[33:36], v3, s[8:9] offset:488
	;; [unrolled: 1-line block ×3, first 2 shown]
	v_and_b32_e32 v3, 31, v20
	v_lshlrev_b32_e32 v15, 5, v3
	global_load_dwordx2 v[63:64], v15, s[8:9] offset:480
	ds_read_b128 v[41:44], v85 offset:16128
	ds_read_b128 v[45:48], v85 offset:26880
	ds_read_b128 v[49:52], v85 offset:14336
	ds_read_b128 v[53:56], v85 offset:25088
	s_mov_b32 s2, 0xe8584caa
	s_mov_b32 s3, 0x3febb67a
	;; [unrolled: 1-line block ×3, first 2 shown]
	v_lshrrev_b32_e32 v17, 5, v84
	v_mul_u32_u24_e32 v17, 0x60, v17
	v_or_b32_e32 v17, v17, v1
	v_lshlrev_b32_e32 v17, 4, v17
	v_add3_u32 v17, 0, v17, v18
	s_waitcnt vmcnt(8) lgkmcnt(3)
	v_mul_f64 v[15:16], v[43:44], v[9:10]
	v_mul_f64 v[9:10], v[41:42], v[9:10]
	s_waitcnt vmcnt(7) lgkmcnt(2)
	v_mul_f64 v[57:58], v[47:48], v[13:14]
	v_mul_f64 v[59:60], v[45:46], v[13:14]
	;; [unrolled: 3-line block ×3, first 2 shown]
	v_fma_f64 v[65:66], v[41:42], v[7:8], -v[15:16]
	ds_read_b128 v[13:16], v85 offset:10752
	v_fma_f64 v[67:68], v[43:44], v[7:8], v[9:10]
	ds_read_b128 v[7:10], v85 offset:12544
	ds_read_b128 v[41:44], v85 offset:17920
	v_fma_f64 v[69:70], v[45:46], v[11:12], -v[57:58]
	v_fma_f64 v[71:72], v[47:48], v[11:12], v[59:60]
	ds_read_b128 v[45:48], v85 offset:19712
	s_waitcnt lgkmcnt(3)
	v_mul_f64 v[11:12], v[15:16], v[23:24]
	v_mul_f64 v[73:74], v[13:14], v[23:24]
	s_waitcnt lgkmcnt(1)
	v_mul_f64 v[79:80], v[43:44], v[23:24]
	v_mul_f64 v[23:24], v[41:42], v[23:24]
	ds_read_b128 v[57:60], v85 offset:21504
	v_fma_f64 v[49:50], v[49:50], v[21:22], -v[75:76]
	v_fma_f64 v[51:52], v[51:52], v[21:22], v[77:78]
	v_fma_f64 v[81:82], v[13:14], v[21:22], -v[11:12]
	ds_read_b128 v[11:14], v85 offset:23296
	v_fma_f64 v[15:16], v[15:16], v[21:22], v[73:74]
	s_waitcnt vmcnt(5) lgkmcnt(1)
	v_mul_f64 v[73:74], v[59:60], v[27:28]
	v_mul_f64 v[75:76], v[57:58], v[27:28]
	v_fma_f64 v[79:80], v[41:42], v[21:22], -v[79:80]
	v_fma_f64 v[94:95], v[43:44], v[21:22], v[23:24]
	ds_read_b128 v[21:24], v85 offset:28672
	v_mul_f64 v[77:78], v[55:56], v[27:28]
	ds_read_b128 v[41:44], v85 offset:30464
	v_mul_f64 v[96:97], v[53:54], v[27:28]
	v_fma_f64 v[57:58], v[57:58], v[25:26], -v[73:74]
	v_fma_f64 v[59:60], v[59:60], v[25:26], v[75:76]
	s_waitcnt lgkmcnt(1)
	v_mul_f64 v[73:74], v[23:24], v[27:28]
	v_mul_f64 v[27:28], v[21:22], v[27:28]
	s_waitcnt vmcnt(4) lgkmcnt(0)
	v_mul_f64 v[75:76], v[43:44], v[61:62]
	v_fma_f64 v[53:54], v[53:54], v[25:26], -v[77:78]
	v_mul_f64 v[61:62], v[41:42], v[61:62]
	s_waitcnt vmcnt(3)
	v_mul_f64 v[77:78], v[13:14], v[31:32]
	v_mul_f64 v[31:32], v[11:12], v[31:32]
	v_fma_f64 v[55:56], v[55:56], v[25:26], v[96:97]
	s_waitcnt vmcnt(2)
	v_mul_f64 v[96:97], v[47:48], v[33:34]
	v_fma_f64 v[73:74], v[21:22], v[25:26], -v[73:74]
	v_fma_f64 v[98:99], v[23:24], v[25:26], v[27:28]
	v_fma_f64 v[75:76], v[41:42], v[29:30], -v[75:76]
	v_fma_f64 v[61:62], v[43:44], v[29:30], v[61:62]
	v_mul_f64 v[25:26], v[45:46], v[33:34]
	v_fma_f64 v[100:101], v[13:14], v[35:36], v[31:32]
	s_waitcnt vmcnt(1)
	v_mul_f64 v[27:28], v[9:10], v[39:40]
	v_mul_f64 v[29:30], v[7:8], v[39:40]
	v_add_f64 v[31:32], v[81:82], v[57:58]
	v_add_f64 v[33:34], v[15:16], v[59:60]
	v_fma_f64 v[77:78], v[11:12], v[35:36], -v[77:78]
	ds_read_b128 v[11:14], v19
	ds_read_b128 v[21:24], v85 offset:1792
	v_fma_f64 v[45:46], v[45:46], v[37:38], -v[96:97]
	v_fma_f64 v[47:48], v[47:48], v[37:38], v[25:26]
	s_waitcnt vmcnt(0)
	v_fma_f64 v[96:97], v[7:8], v[63:64], -v[27:28]
	s_waitcnt lgkmcnt(1)
	v_add_f64 v[35:36], v[13:14], v[15:16]
	v_add_f64 v[25:26], v[11:12], v[81:82]
	v_fma_f64 v[63:64], v[9:10], v[63:64], v[29:30]
	v_fma_f64 v[27:28], v[31:32], -0.5, v[11:12]
	v_fma_f64 v[29:30], v[33:34], -0.5, v[13:14]
	v_add_f64 v[13:14], v[15:16], -v[59:60]
	v_add_f64 v[15:16], v[81:82], -v[57:58]
	v_add_f64 v[9:10], v[35:36], v[59:60]
	v_add_f64 v[7:8], v[25:26], v[57:58]
	;; [unrolled: 1-line block ×3, first 2 shown]
	s_waitcnt lgkmcnt(0)
	v_add_f64 v[59:60], v[23:24], v[63:64]
	v_add_f64 v[63:64], v[63:64], -v[100:101]
	v_fma_f64 v[11:12], v[13:14], s[2:3], v[27:28]
	v_fma_f64 v[25:26], v[13:14], s[4:5], v[27:28]
	;; [unrolled: 1-line block ×4, first 2 shown]
	v_add_f64 v[15:16], v[96:97], v[77:78]
	ds_read_b128 v[29:32], v85 offset:3584
	ds_read_b128 v[33:36], v85 offset:5376
	;; [unrolled: 1-line block ×4, first 2 shown]
	s_waitcnt lgkmcnt(0)
	s_barrier
	ds_write_b128 v17, v[7:10]
	ds_write_b128 v17, v[11:14] offset:512
	ds_write_b128 v17, v[25:28] offset:1024
	v_fma_f64 v[23:24], v[57:58], -0.5, v[23:24]
	v_add_f64 v[57:58], v[96:97], -v[77:78]
	v_fma_f64 v[15:16], v[15:16], -0.5, v[21:22]
	v_add_f64 v[21:22], v[21:22], v[96:97]
	v_add_f64 v[9:10], v[59:60], v[100:101]
	;; [unrolled: 1-line block ×4, first 2 shown]
	v_add_f64 v[51:52], v[51:52], -v[55:56]
	v_lshrrev_b32_e32 v17, 5, v20
	v_fma_f64 v[13:14], v[57:58], s[4:5], v[23:24]
	v_fma_f64 v[11:12], v[63:64], s[2:3], v[15:16]
	v_add_f64 v[7:8], v[21:22], v[77:78]
	v_fma_f64 v[21:22], v[63:64], s[4:5], v[15:16]
	v_add_f64 v[15:16], v[49:50], v[53:54]
	v_fma_f64 v[23:24], v[57:58], s[2:3], v[23:24]
	v_mul_u32_u24_e32 v17, 0x60, v17
	v_or_b32_e32 v3, v17, v3
	v_lshlrev_b32_e32 v3, 4, v3
	v_add3_u32 v3, 0, v3, v18
	v_fma_f64 v[25:26], v[25:26], -0.5, v[31:32]
	v_add_f64 v[31:32], v[49:50], -v[53:54]
	v_fma_f64 v[15:16], v[15:16], -0.5, v[29:30]
	v_add_f64 v[29:30], v[29:30], v[49:50]
	ds_write_b128 v3, v[7:10]
	ds_write_b128 v3, v[11:14] offset:512
	ds_write_b128 v3, v[21:24] offset:1024
	v_add_f64 v[9:10], v[27:28], v[55:56]
	v_lshrrev_b32_e32 v3, 5, v92
	v_mul_u32_u24_e32 v3, 0x60, v3
	v_or_b32_e32 v3, v3, v1
	v_fma_f64 v[13:14], v[31:32], s[4:5], v[25:26]
	v_fma_f64 v[11:12], v[51:52], s[2:3], v[15:16]
	;; [unrolled: 1-line block ×3, first 2 shown]
	v_add_f64 v[15:16], v[65:66], v[69:70]
	v_add_f64 v[7:8], v[29:30], v[53:54]
	v_fma_f64 v[23:24], v[31:32], s[2:3], v[25:26]
	v_add_f64 v[31:32], v[67:68], -v[71:72]
	v_add_f64 v[25:26], v[67:68], v[71:72]
	v_lshlrev_b32_e32 v3, 4, v3
	v_add3_u32 v3, 0, v3, v18
	v_add_f64 v[27:28], v[35:36], v[67:68]
	v_fma_f64 v[15:16], v[15:16], -0.5, v[33:34]
	v_add_f64 v[29:30], v[33:34], v[65:66]
	ds_write_b128 v3, v[7:10]
	ds_write_b128 v3, v[11:14] offset:512
	ds_write_b128 v3, v[21:24] offset:1024
	v_add_f64 v[33:34], v[65:66], -v[69:70]
	v_fma_f64 v[25:26], v[25:26], -0.5, v[35:36]
	v_lshrrev_b32_e32 v3, 5, v6
	v_mul_u32_u24_e32 v3, 0x60, v3
	v_or_b32_e32 v2, v3, v2
	v_fma_f64 v[11:12], v[31:32], s[2:3], v[15:16]
	v_fma_f64 v[21:22], v[31:32], s[4:5], v[15:16]
	v_add_f64 v[15:16], v[79:80], v[73:74]
	v_lshlrev_b32_e32 v2, 4, v2
	v_add_f64 v[9:10], v[27:28], v[71:72]
	v_add_f64 v[7:8], v[29:30], v[69:70]
	v_add3_u32 v17, 0, v2, v18
	v_fma_f64 v[13:14], v[33:34], s[4:5], v[25:26]
	v_fma_f64 v[23:24], v[33:34], s[2:3], v[25:26]
	v_add_f64 v[25:26], v[94:95], v[98:99]
	v_fma_f64 v[2:3], v[15:16], -0.5, v[37:38]
	v_add_f64 v[15:16], v[39:40], v[94:95]
	v_add_f64 v[29:30], v[94:95], -v[98:99]
	ds_write_b128 v17, v[7:10]
	ds_write_b128 v17, v[11:14] offset:512
	ds_write_b128 v17, v[21:24] offset:1024
	v_add_f64 v[27:28], v[37:38], v[79:80]
	v_add_f64 v[31:32], v[79:80], -v[73:74]
	v_fma_f64 v[25:26], v[25:26], -0.5, v[39:40]
	v_add_f64 v[9:10], v[15:16], v[98:99]
	v_lshrrev_b32_e32 v15, 5, v5
	v_fma_f64 v[11:12], v[29:30], s[2:3], v[2:3]
	v_fma_f64 v[21:22], v[29:30], s[4:5], v[2:3]
	v_add_f64 v[2:3], v[45:46], v[75:76]
	v_mul_u32_u24_e32 v17, 0x60, v15
	v_add_f64 v[15:16], v[47:48], v[61:62]
	v_or_b32_e32 v1, v17, v1
	v_lshlrev_b32_e32 v1, 4, v1
	v_add_f64 v[7:8], v[27:28], v[73:74]
	v_fma_f64 v[13:14], v[31:32], s[4:5], v[25:26]
	v_fma_f64 v[23:24], v[31:32], s[2:3], v[25:26]
	v_add3_u32 v17, 0, v1, v18
	v_fma_f64 v[1:2], v[2:3], -0.5, v[41:42]
	v_add_f64 v[25:26], v[43:44], v[47:48]
	v_add_f64 v[27:28], v[41:42], v[45:46]
	v_add_f64 v[29:30], v[47:48], -v[61:62]
	v_fma_f64 v[15:16], v[15:16], -0.5, v[43:44]
	v_add_f64 v[31:32], v[45:46], -v[75:76]
	ds_write_b128 v17, v[7:10]
	ds_write_b128 v17, v[11:14] offset:512
	ds_write_b128 v17, v[21:24] offset:1024
	v_add_f64 v[9:10], v[25:26], v[61:62]
	v_add_f64 v[7:8], v[27:28], v[75:76]
	v_fma_f64 v[11:12], v[29:30], s[2:3], v[1:2]
	v_fma_f64 v[21:22], v[29:30], s[4:5], v[1:2]
	;; [unrolled: 1-line block ×4, first 2 shown]
	v_lshrrev_b32_e32 v1, 5, v4
	v_mul_u32_u24_e32 v1, 0x60, v1
	v_or_b32_e32 v0, v1, v0
	v_lshlrev_b32_e32 v0, 4, v0
	v_add3_u32 v0, 0, v0, v18
	ds_write_b128 v0, v[7:10]
	ds_write_b128 v0, v[11:14] offset:512
	ds_write_b128 v0, v[21:24] offset:1024
	v_add_u32_e32 v0, 0xffffffa0, v84
	v_cndmask_b32_e32 v9, v0, v84, vcc
	v_lshlrev_b32_e32 v88, 1, v9
	v_lshlrev_b64 v[0:1], 4, v[88:89]
	v_mov_b32_e32 v2, s9
	v_add_co_u32_e32 v0, vcc, s8, v0
	v_addc_co_u32_e32 v1, vcc, v2, v1, vcc
	s_waitcnt lgkmcnt(0)
	s_barrier
	global_load_dwordx4 v[10:13], v[0:1], off offset:1504
	global_load_dwordx4 v[22:25], v[0:1], off offset:1520
	v_mul_lo_u16_sdwa v0, v20, s10 dst_sel:DWORD dst_unused:UNUSED_PAD src0_sel:BYTE_0 src1_sel:DWORD
	v_lshrrev_b16_e32 v3, 14, v0
	v_mul_lo_u16_e32 v0, 0x60, v3
	v_sub_u16_e32 v7, v20, v0
	v_mov_b32_e32 v0, 5
	v_lshlrev_b32_sdwa v0, v0, v7 dst_sel:DWORD dst_unused:UNUSED_PAD src0_sel:DWORD src1_sel:BYTE_0
	global_load_dwordx4 v[26:29], v0, s[8:9] offset:1504
	global_load_dwordx4 v[30:33], v0, s[8:9] offset:1520
	s_mov_b32 s10, 0xaaab
	v_mul_u32_u24_sdwa v0, v92, s10 dst_sel:DWORD dst_unused:UNUSED_PAD src0_sel:WORD_0 src1_sel:DWORD
	v_lshrrev_b32_e32 v1, 22, v0
	v_mul_lo_u16_e32 v0, 0x60, v1
	v_sub_u16_e32 v2, v92, v0
	v_lshlrev_b32_e32 v0, 5, v2
	global_load_dwordx4 v[34:37], v0, s[8:9] offset:1504
	global_load_dwordx4 v[38:41], v0, s[8:9] offset:1520
	v_mul_u32_u24_sdwa v0, v6, s10 dst_sel:DWORD dst_unused:UNUSED_PAD src0_sel:WORD_0 src1_sel:DWORD
	v_lshrrev_b32_e32 v8, 22, v0
	v_mul_lo_u16_e32 v0, 0x60, v8
	v_sub_u16_e32 v0, v6, v0
	v_lshlrev_b32_e32 v6, 5, v0
	global_load_dwordx4 v[42:45], v6, s[8:9] offset:1504
	global_load_dwordx4 v[46:49], v6, s[8:9] offset:1520
	;; [unrolled: 7-line block ×4, first 2 shown]
	ds_read_b128 v[66:69], v85 offset:10752
	ds_read_b128 v[70:73], v85 offset:21504
	;; [unrolled: 1-line block ×3, first 2 shown]
	s_movk_i32 s10, 0x5f
	v_cmp_lt_u32_e32 vcc, s10, v84
	s_movk_i32 s10, 0x1200
	v_mad_u32_u24 v3, v3, s10, 0
	v_mad_u32_u24 v1, v1, s10, 0
	v_lshlrev_b32_e32 v2, 4, v2
	v_lshlrev_b32_e32 v0, 4, v0
	v_mad_u32_u24 v16, v16, s10, 0
	v_lshlrev_b32_e32 v17, 4, v17
	v_add3_u32 v16, v16, v17, v18
	v_mad_u32_u24 v17, v20, s10, 0
	v_lshlrev_b32_e32 v20, 4, v21
	v_add3_u32 v17, v17, v20, v18
	s_waitcnt vmcnt(11) lgkmcnt(2)
	v_mul_f64 v[4:5], v[68:69], v[12:13]
	v_mul_f64 v[78:79], v[66:67], v[12:13]
	s_waitcnt vmcnt(10) lgkmcnt(1)
	v_mul_f64 v[80:81], v[72:73], v[24:25]
	v_mul_f64 v[24:25], v[70:71], v[24:25]
	ds_read_b128 v[12:15], v85 offset:23296
	v_fma_f64 v[4:5], v[66:67], v[10:11], -v[4:5]
	s_waitcnt vmcnt(9) lgkmcnt(1)
	v_mul_f64 v[66:67], v[76:77], v[28:29]
	v_fma_f64 v[82:83], v[68:69], v[10:11], v[78:79]
	v_fma_f64 v[94:95], v[70:71], v[22:23], -v[80:81]
	v_fma_f64 v[96:97], v[72:73], v[22:23], v[24:25]
	ds_read_b128 v[22:25], v85 offset:14336
	v_mul_f64 v[10:11], v[74:75], v[28:29]
	s_waitcnt vmcnt(8) lgkmcnt(1)
	v_mul_f64 v[28:29], v[14:15], v[32:33]
	v_mul_f64 v[32:33], v[12:13], v[32:33]
	v_fma_f64 v[74:75], v[74:75], v[26:27], -v[66:67]
	ds_read_b128 v[66:69], v85 offset:25088
	ds_read_b128 v[70:73], v85 offset:16128
	s_waitcnt vmcnt(7) lgkmcnt(2)
	v_mul_f64 v[98:99], v[24:25], v[36:37]
	v_mul_f64 v[36:37], v[22:23], v[36:37]
	ds_read_b128 v[78:81], v85 offset:26880
	v_fma_f64 v[76:77], v[76:77], v[26:27], v[10:11]
	s_waitcnt vmcnt(5) lgkmcnt(1)
	v_mul_f64 v[10:11], v[72:73], v[44:45]
	v_mul_f64 v[100:101], v[68:69], v[40:41]
	;; [unrolled: 1-line block ×3, first 2 shown]
	v_fma_f64 v[102:103], v[12:13], v[30:31], -v[28:29]
	v_fma_f64 v[98:99], v[22:23], v[34:35], -v[98:99]
	v_fma_f64 v[104:105], v[24:25], v[34:35], v[36:37]
	v_mul_f64 v[34:35], v[70:71], v[44:45]
	v_fma_f64 v[14:15], v[14:15], v[30:31], v[32:33]
	v_fma_f64 v[70:71], v[70:71], v[42:43], -v[10:11]
	ds_read_b128 v[10:13], v85 offset:17920
	ds_read_b128 v[22:25], v85 offset:28672
	;; [unrolled: 1-line block ×3, first 2 shown]
	v_fma_f64 v[66:67], v[66:67], v[38:39], -v[100:101]
	v_fma_f64 v[68:69], v[68:69], v[38:39], v[40:41]
	s_waitcnt vmcnt(4) lgkmcnt(3)
	v_mul_f64 v[36:37], v[80:81], v[48:49]
	v_mul_f64 v[38:39], v[78:79], v[48:49]
	s_waitcnt vmcnt(3) lgkmcnt(2)
	v_mul_f64 v[40:41], v[12:13], v[52:53]
	v_mul_f64 v[44:45], v[10:11], v[52:53]
	;; [unrolled: 3-line block ×3, first 2 shown]
	v_fma_f64 v[56:57], v[72:73], v[42:43], v[34:35]
	s_waitcnt vmcnt(1) lgkmcnt(0)
	v_mul_f64 v[34:35], v[28:29], v[60:61]
	v_fma_f64 v[72:73], v[78:79], v[46:47], -v[36:37]
	v_fma_f64 v[78:79], v[80:81], v[46:47], v[38:39]
	v_add_f64 v[36:37], v[4:5], v[94:95]
	v_mul_f64 v[38:39], v[26:27], v[60:61]
	v_fma_f64 v[100:101], v[22:23], v[54:55], -v[48:49]
	v_fma_f64 v[52:53], v[24:25], v[54:55], v[52:53]
	ds_read_b128 v[30:33], v85 offset:30464
	v_fma_f64 v[54:55], v[26:27], v[58:59], -v[34:35]
	v_add_f64 v[26:27], v[82:83], v[96:97]
	v_fma_f64 v[80:81], v[10:11], v[50:51], -v[40:41]
	v_fma_f64 v[50:51], v[12:13], v[50:51], v[44:45]
	ds_read_b128 v[10:13], v19
	ds_read_b128 v[22:25], v85 offset:1792
	s_waitcnt vmcnt(0) lgkmcnt(2)
	v_mul_f64 v[34:35], v[32:33], v[64:65]
	v_mul_f64 v[40:41], v[30:31], v[64:65]
	v_fma_f64 v[58:59], v[28:29], v[58:59], v[38:39]
	s_waitcnt lgkmcnt(1)
	v_fma_f64 v[36:37], v[36:37], -0.5, v[10:11]
	v_add_f64 v[10:11], v[10:11], v[4:5]
	v_fma_f64 v[46:47], v[26:27], -0.5, v[12:13]
	v_add_f64 v[4:5], v[4:5], -v[94:95]
	v_add_f64 v[42:43], v[12:13], v[82:83]
	v_fma_f64 v[60:61], v[30:31], v[62:63], -v[34:35]
	v_fma_f64 v[62:63], v[32:33], v[62:63], v[40:41]
	v_add_f64 v[44:45], v[82:83], -v[96:97]
	v_add_f64 v[64:65], v[76:77], v[14:15]
	v_add_f64 v[10:11], v[10:11], v[94:95]
	s_waitcnt lgkmcnt(0)
	v_add_f64 v[82:83], v[24:25], v[76:77]
	v_fma_f64 v[28:29], v[4:5], s[4:5], v[46:47]
	v_fma_f64 v[32:33], v[4:5], s[2:3], v[46:47]
	v_mov_b32_e32 v4, 0x1200
	v_cndmask_b32_e32 v4, 0, v4, vcc
	v_add_u32_e32 v4, 0, v4
	v_lshlrev_b32_e32 v5, 4, v9
	v_add3_u32 v6, v4, v5, v18
	v_add_f64 v[4:5], v[74:75], v[102:103]
	v_add_f64 v[12:13], v[42:43], v[96:97]
	v_add_f64 v[76:77], v[76:77], -v[14:15]
	v_fma_f64 v[26:27], v[44:45], s[2:3], v[36:37]
	v_fma_f64 v[30:31], v[44:45], s[4:5], v[36:37]
	ds_read_b128 v[34:37], v85 offset:3584
	ds_read_b128 v[38:41], v85 offset:5376
	;; [unrolled: 1-line block ×4, first 2 shown]
	s_waitcnt lgkmcnt(0)
	s_barrier
	v_fma_f64 v[4:5], v[4:5], -0.5, v[22:23]
	v_add_f64 v[22:23], v[22:23], v[74:75]
	v_fma_f64 v[64:65], v[64:65], -0.5, v[24:25]
	v_add_f64 v[74:75], v[74:75], -v[102:103]
	ds_write_b128 v6, v[10:13]
	ds_write_b128 v6, v[26:29] offset:1536
	ds_write_b128 v6, v[30:33] offset:3072
	v_mov_b32_e32 v6, 4
	v_lshlrev_b32_sdwa v13, v6, v7 dst_sel:DWORD dst_unused:UNUSED_PAD src0_sel:DWORD src1_sel:BYTE_0
	v_fma_f64 v[26:27], v[76:77], s[4:5], v[4:5]
	v_add_f64 v[9:10], v[22:23], v[102:103]
	v_fma_f64 v[22:23], v[76:77], s[2:3], v[4:5]
	v_add_f64 v[4:5], v[98:99], v[66:67]
	v_add_f64 v[6:7], v[104:105], v[68:69]
	;; [unrolled: 1-line block ×3, first 2 shown]
	v_fma_f64 v[24:25], v[74:75], s[4:5], v[64:65]
	v_add3_u32 v15, v3, v13, v18
	v_add_f64 v[32:33], v[104:105], -v[68:69]
	v_fma_f64 v[28:29], v[74:75], s[2:3], v[64:65]
	v_add_f64 v[30:31], v[34:35], v[98:99]
	v_fma_f64 v[13:14], v[4:5], -0.5, v[34:35]
	v_add_f64 v[3:4], v[36:37], v[104:105]
	v_fma_f64 v[34:35], v[6:7], -0.5, v[36:37]
	v_add_f64 v[36:37], v[98:99], -v[66:67]
	ds_write_b128 v15, v[9:12]
	ds_write_b128 v15, v[22:25] offset:1536
	ds_write_b128 v15, v[26:29] offset:3072
	v_add_f64 v[26:27], v[70:71], v[72:73]
	v_add3_u32 v7, v1, v2, v18
	v_fma_f64 v[9:10], v[32:33], s[2:3], v[13:14]
	v_fma_f64 v[22:23], v[32:33], s[4:5], v[13:14]
	v_add_f64 v[13:14], v[56:57], v[78:79]
	v_add_f64 v[5:6], v[3:4], v[68:69]
	;; [unrolled: 1-line block ×5, first 2 shown]
	v_fma_f64 v[11:12], v[36:37], s[4:5], v[34:35]
	v_fma_f64 v[24:25], v[36:37], s[2:3], v[34:35]
	v_add_f64 v[32:33], v[70:71], -v[72:73]
	v_fma_f64 v[13:14], v[13:14], -0.5, v[40:41]
	v_fma_f64 v[26:27], v[26:27], -0.5, v[38:39]
	v_add_f64 v[30:31], v[56:57], -v[78:79]
	ds_write_b128 v7, v[3:6]
	ds_write_b128 v7, v[9:12] offset:1536
	ds_write_b128 v7, v[22:25] offset:3072
	v_add_f64 v[3:4], v[1:2], v[78:79]
	v_add_f64 v[1:2], v[28:29], v[72:73]
	v_mad_u32_u24 v7, v8, s10, 0
	v_fma_f64 v[11:12], v[32:33], s[4:5], v[13:14]
	v_fma_f64 v[24:25], v[32:33], s[2:3], v[13:14]
	v_add3_u32 v13, v7, v0, v18
	v_fma_f64 v[9:10], v[30:31], s[2:3], v[26:27]
	v_fma_f64 v[22:23], v[30:31], s[4:5], v[26:27]
	v_add_f64 v[5:6], v[80:81], v[100:101]
	ds_write_b128 v13, v[1:4]
	v_add_f64 v[0:1], v[50:51], v[52:53]
	v_add_f64 v[2:3], v[44:45], v[50:51]
	;; [unrolled: 1-line block ×4, first 2 shown]
	ds_write_b128 v13, v[9:12] offset:1536
	v_add_f64 v[11:12], v[54:55], v[60:61]
	ds_write_b128 v13, v[22:25] offset:3072
	v_fma_f64 v[4:5], v[5:6], -0.5, v[42:43]
	v_fma_f64 v[13:14], v[0:1], -0.5, v[44:45]
	v_add_f64 v[0:1], v[58:59], v[62:63]
	v_add_f64 v[9:10], v[50:51], -v[52:53]
	v_add_f64 v[24:25], v[2:3], v[52:53]
	v_add_f64 v[2:3], v[80:81], -v[100:101]
	v_add_f64 v[22:23], v[7:8], v[100:101]
	v_add_f64 v[6:7], v[48:49], v[58:59]
	v_fma_f64 v[11:12], v[11:12], -0.5, v[46:47]
	v_add_f64 v[32:33], v[58:59], -v[62:63]
	v_fma_f64 v[34:35], v[0:1], -0.5, v[48:49]
	v_add_f64 v[36:37], v[54:55], -v[60:61]
	v_fma_f64 v[0:1], v[9:10], s[4:5], v[4:5]
	v_fma_f64 v[28:29], v[2:3], s[4:5], v[13:14]
	;; [unrolled: 1-line block ×4, first 2 shown]
	v_add_f64 v[6:7], v[6:7], v[62:63]
	v_add_f64 v[4:5], v[30:31], v[60:61]
	v_fma_f64 v[8:9], v[32:33], s[2:3], v[11:12]
	v_fma_f64 v[12:13], v[32:33], s[4:5], v[11:12]
	;; [unrolled: 1-line block ×4, first 2 shown]
	ds_write_b128 v16, v[22:25]
	ds_write_b128 v16, v[26:29] offset:1536
	ds_write_b128 v16, v[0:3] offset:3072
	ds_write_b128 v17, v[4:7]
	ds_write_b128 v17, v[8:11] offset:1536
	ds_write_b128 v17, v[12:15] offset:3072
	s_waitcnt lgkmcnt(0)
	s_barrier
	ds_read_b128 v[32:35], v19
	ds_read_b128 v[28:31], v85 offset:1792
	ds_read_b128 v[80:83], v85 offset:4608
	;; [unrolled: 1-line block ×13, first 2 shown]
	v_cmp_gt_u32_e32 vcc, 64, v84
                                        ; implicit-def: $vgpr26_vgpr27
                                        ; implicit-def: $vgpr22_vgpr23
                                        ; implicit-def: $vgpr18_vgpr19
	s_and_saveexec_b64 s[2:3], vcc
	s_cbranch_execz .LBB0_19
; %bb.18:
	ds_read_b128 v[0:3], v85 offset:3584
	ds_read_b128 v[4:7], v85 offset:8192
	;; [unrolled: 1-line block ×7, first 2 shown]
.LBB0_19:
	s_or_b64 exec, exec, s[2:3]
	v_lshl_add_u32 v88, v91, 4, v93
	v_mul_u32_u24_e32 v91, 6, v84
	v_lshlrev_b32_e32 v91, 4, v91
	v_add_co_u32_e64 v91, s[2:3], s8, v91
	v_mov_b32_e32 v93, s9
	v_addc_co_u32_e64 v113, s[2:3], 0, v93, s[2:3]
	s_movk_i32 s2, 0x11e0
	v_add_co_u32_e64 v109, s[2:3], s2, v91
	v_addc_co_u32_e64 v110, s[2:3], 0, v113, s[2:3]
	v_add_co_u32_e64 v111, s[2:3], s6, v91
	v_addc_co_u32_e64 v112, s[2:3], 0, v113, s[2:3]
	global_load_dwordx4 v[93:96], v[111:112], off offset:480
	global_load_dwordx4 v[97:100], v[109:110], off offset:48
	;; [unrolled: 1-line block ×4, first 2 shown]
	s_movk_i32 s28, 0x1220
	s_mov_b32 s10, 0x37e14327
	s_mov_b32 s16, 0xe976ee23
	;; [unrolled: 1-line block ×16, first 2 shown]
	s_waitcnt vmcnt(3) lgkmcnt(11)
	v_mul_f64 v[109:110], v[82:83], v[95:96]
	v_fma_f64 v[109:110], v[80:81], v[93:94], -v[109:110]
	v_mul_f64 v[80:81], v[80:81], v[95:96]
	v_fma_f64 v[80:81], v[82:83], v[93:94], v[80:81]
	s_waitcnt vmcnt(0) lgkmcnt(9)
	v_mul_f64 v[82:83], v[78:79], v[107:108]
	v_fma_f64 v[82:83], v[76:77], v[105:106], -v[82:83]
	v_mul_f64 v[76:77], v[76:77], v[107:108]
	v_fma_f64 v[76:77], v[78:79], v[105:106], v[76:77]
	s_waitcnt lgkmcnt(7)
	v_mul_f64 v[78:79], v[74:75], v[103:104]
	v_fma_f64 v[78:79], v[72:73], v[101:102], -v[78:79]
	v_mul_f64 v[72:73], v[72:73], v[103:104]
	v_fma_f64 v[93:94], v[74:75], v[101:102], v[72:73]
	s_waitcnt lgkmcnt(5)
	v_mul_f64 v[72:73], v[70:71], v[99:100]
	v_fma_f64 v[95:96], v[68:69], v[97:98], -v[72:73]
	v_mul_f64 v[68:69], v[68:69], v[99:100]
	v_add_co_u32_e64 v99, s[2:3], s28, v91
	v_addc_co_u32_e64 v100, s[2:3], 0, v113, s[2:3]
	s_movk_i32 s2, 0x3be0
	v_add_co_u32_e64 v107, s[2:3], s2, v91
	v_fma_f64 v[97:98], v[70:71], v[97:98], v[68:69]
	global_load_dwordx4 v[68:71], v[111:112], off offset:544
	global_load_dwordx4 v[72:75], v[99:100], off offset:16
	v_addc_co_u32_e64 v108, s[2:3], 0, v113, s[2:3]
	v_add_co_u32_e64 v111, s[2:3], s7, v91
	v_addc_co_u32_e64 v112, s[2:3], 0, v113, s[2:3]
	s_movk_i32 s2, 0x3c20
	s_mov_b32 s6, 0x36b3c0b5
	s_mov_b32 s7, 0x3fac98ee
	s_waitcnt vmcnt(1) lgkmcnt(3)
	v_mul_f64 v[99:100], v[66:67], v[70:71]
	v_fma_f64 v[99:100], v[64:65], v[68:69], -v[99:100]
	v_mul_f64 v[64:65], v[64:65], v[70:71]
	v_fma_f64 v[101:102], v[66:67], v[68:69], v[64:65]
	s_waitcnt vmcnt(0) lgkmcnt(1)
	v_mul_f64 v[64:65], v[62:63], v[74:75]
	v_fma_f64 v[103:104], v[60:61], v[72:73], -v[64:65]
	v_mul_f64 v[60:61], v[60:61], v[74:75]
	v_fma_f64 v[105:106], v[62:63], v[72:73], v[60:61]
	global_load_dwordx4 v[60:63], v[111:112], off offset:3040
	global_load_dwordx4 v[64:67], v[107:108], off offset:48
	;; [unrolled: 1-line block ×4, first 2 shown]
	s_waitcnt vmcnt(3)
	v_mul_f64 v[107:108], v[58:59], v[62:63]
	v_fma_f64 v[107:108], v[56:57], v[60:61], -v[107:108]
	v_mul_f64 v[56:57], v[56:57], v[62:63]
	v_fma_f64 v[60:61], v[58:59], v[60:61], v[56:57]
	s_waitcnt vmcnt(0)
	v_mul_f64 v[56:57], v[54:55], v[74:75]
	v_add_f64 v[58:59], v[97:98], -v[93:94]
	v_fma_f64 v[62:63], v[52:53], v[72:73], -v[56:57]
	v_mul_f64 v[52:53], v[52:53], v[74:75]
	v_add_f64 v[56:57], v[95:96], -v[78:79]
	v_fma_f64 v[72:73], v[54:55], v[72:73], v[52:53]
	v_mul_f64 v[52:53], v[50:51], v[70:71]
	v_add_f64 v[54:55], v[93:94], v[97:98]
	v_fma_f64 v[74:75], v[48:49], v[68:69], -v[52:53]
	v_mul_f64 v[48:49], v[48:49], v[70:71]
	v_add_co_u32_e64 v52, s[2:3], s2, v91
	v_addc_co_u32_e64 v53, s[2:3], 0, v113, s[2:3]
	s_mov_b32 s2, 0x429ad128
	s_mov_b32 s3, 0x3febfeb5
	v_fma_f64 v[68:69], v[50:51], v[68:69], v[48:49]
	v_mul_f64 v[48:49], v[46:47], v[66:67]
	v_fma_f64 v[70:71], v[44:45], v[64:65], -v[48:49]
	v_mul_f64 v[44:45], v[44:45], v[66:67]
	v_fma_f64 v[64:65], v[46:47], v[64:65], v[44:45]
	global_load_dwordx4 v[44:47], v[111:112], off offset:3104
	global_load_dwordx4 v[48:51], v[52:53], off offset:16
	s_waitcnt vmcnt(0) lgkmcnt(0)
	s_barrier
	v_mul_f64 v[52:53], v[42:43], v[46:47]
	v_fma_f64 v[66:67], v[40:41], v[44:45], -v[52:53]
	v_mul_f64 v[40:41], v[40:41], v[46:47]
	v_add_f64 v[46:47], v[76:77], v[101:102]
	v_add_f64 v[52:53], v[78:79], v[95:96]
	v_fma_f64 v[111:112], v[42:43], v[44:45], v[40:41]
	v_mul_f64 v[40:41], v[38:39], v[50:51]
	v_add_f64 v[44:45], v[82:83], v[99:100]
	v_add_f64 v[42:43], v[80:81], -v[105:106]
	v_fma_f64 v[113:114], v[36:37], v[48:49], -v[40:41]
	v_mul_f64 v[36:37], v[36:37], v[50:51]
	v_add_f64 v[40:41], v[109:110], -v[103:104]
	v_add_f64 v[50:51], v[76:77], -v[101:102]
	v_fma_f64 v[115:116], v[38:39], v[48:49], v[36:37]
	v_add_f64 v[36:37], v[109:110], v[103:104]
	v_add_f64 v[38:39], v[80:81], v[105:106]
	v_add_f64 v[48:49], v[82:83], -v[99:100]
	v_add_f64 v[95:96], v[58:59], v[50:51]
	v_add_f64 v[99:100], v[58:59], -v[50:51]
	v_add_f64 v[58:59], v[42:43], -v[58:59]
	;; [unrolled: 1-line block ×3, first 2 shown]
	v_add_f64 v[76:77], v[44:45], v[36:37]
	v_add_f64 v[78:79], v[46:47], v[38:39]
	v_add_f64 v[80:81], v[44:45], -v[36:37]
	v_add_f64 v[82:83], v[46:47], -v[38:39]
	;; [unrolled: 1-line block ×6, first 2 shown]
	v_add_f64 v[93:94], v[56:57], v[48:49]
	v_add_f64 v[97:98], v[56:57], -v[48:49]
	v_add_f64 v[48:49], v[48:49], -v[40:41]
	v_add_f64 v[52:53], v[52:53], v[76:77]
	v_add_f64 v[54:55], v[54:55], v[78:79]
	v_add_f64 v[56:57], v[40:41], -v[56:57]
	v_add_f64 v[42:43], v[95:96], v[42:43]
	v_mul_f64 v[36:37], v[36:37], s[10:11]
	v_add_f64 v[40:41], v[93:94], v[40:41]
	v_mul_f64 v[38:39], v[38:39], s[10:11]
	v_mul_f64 v[76:77], v[44:45], s[6:7]
	v_add_f64 v[32:33], v[32:33], v[52:53]
	v_add_f64 v[34:35], v[34:35], v[54:55]
	v_mul_f64 v[78:79], v[46:47], s[6:7]
	v_mul_f64 v[93:94], v[97:98], s[16:17]
	;; [unrolled: 1-line block ×5, first 2 shown]
	v_fma_f64 v[44:45], v[44:45], s[6:7], v[36:37]
	v_fma_f64 v[52:53], v[52:53], s[4:5], v[32:33]
	;; [unrolled: 1-line block ×4, first 2 shown]
	v_fma_f64 v[76:77], v[80:81], s[14:15], -v[76:77]
	v_fma_f64 v[78:79], v[82:83], s[14:15], -v[78:79]
	;; [unrolled: 1-line block ×4, first 2 shown]
	v_fma_f64 v[80:81], v[56:57], s[22:23], v[93:94]
	v_fma_f64 v[82:83], v[58:59], s[22:23], v[95:96]
	v_fma_f64 v[48:49], v[48:49], s[2:3], -v[93:94]
	v_fma_f64 v[50:51], v[50:51], s[2:3], -v[95:96]
	;; [unrolled: 1-line block ×4, first 2 shown]
	v_add_f64 v[93:94], v[44:45], v[52:53]
	v_add_f64 v[95:96], v[46:47], v[54:55]
	;; [unrolled: 1-line block ×5, first 2 shown]
	v_fma_f64 v[82:83], v[42:43], s[18:19], v[82:83]
	v_fma_f64 v[97:98], v[40:41], s[18:19], v[48:49]
	;; [unrolled: 1-line block ×4, first 2 shown]
	v_add_f64 v[52:53], v[36:37], v[52:53]
	v_fma_f64 v[80:81], v[40:41], s[18:19], v[80:81]
	v_fma_f64 v[58:59], v[42:43], s[18:19], v[58:59]
	v_add_f64 v[36:37], v[82:83], v[93:94]
	v_add_f64 v[46:47], v[97:98], v[78:79]
	v_add_f64 v[44:45], v[76:77], -v[48:49]
	v_add_f64 v[42:43], v[54:55], -v[56:57]
	v_add_f64 v[48:49], v[48:49], v[76:77]
	v_add_f64 v[50:51], v[78:79], -v[97:98]
	v_add_f64 v[54:55], v[56:57], v[54:55]
	;; [unrolled: 2-line block ×3, first 2 shown]
	v_add_f64 v[78:79], v[60:61], v[115:116]
	v_add_f64 v[82:83], v[62:63], v[66:67]
	;; [unrolled: 1-line block ×3, first 2 shown]
	v_add_f64 v[38:39], v[95:96], -v[80:81]
	v_add_f64 v[40:41], v[58:59], v[52:53]
	v_add_f64 v[52:53], v[52:53], -v[58:59]
	v_add_f64 v[58:59], v[80:81], v[95:96]
	v_add_f64 v[80:81], v[107:108], -v[113:114]
	v_add_f64 v[60:61], v[60:61], -v[115:116]
	;; [unrolled: 1-line block ×4, first 2 shown]
	v_add_f64 v[72:73], v[74:75], v[70:71]
	v_add_f64 v[95:96], v[68:69], v[64:65]
	v_add_f64 v[70:71], v[70:71], -v[74:75]
	v_add_f64 v[64:65], v[64:65], -v[68:69]
	v_add_f64 v[68:69], v[82:83], v[76:77]
	v_add_f64 v[74:75], v[93:94], v[78:79]
	v_add_f64 v[97:98], v[82:83], -v[76:77]
	v_add_f64 v[99:100], v[93:94], -v[78:79]
	;; [unrolled: 1-line block ×6, first 2 shown]
	v_add_f64 v[101:102], v[70:71], v[62:63]
	v_add_f64 v[103:104], v[64:65], v[66:67]
	v_add_f64 v[105:106], v[70:71], -v[62:63]
	v_add_f64 v[107:108], v[64:65], -v[66:67]
	v_add_f64 v[62:63], v[62:63], -v[80:81]
	v_add_f64 v[66:67], v[66:67], -v[60:61]
	v_add_f64 v[68:69], v[72:73], v[68:69]
	v_add_f64 v[72:73], v[95:96], v[74:75]
	v_add_f64 v[70:71], v[80:81], -v[70:71]
	v_add_f64 v[64:65], v[60:61], -v[64:65]
	v_add_f64 v[74:75], v[101:102], v[80:81]
	v_add_f64 v[60:61], v[103:104], v[60:61]
	v_mul_f64 v[76:77], v[76:77], s[10:11]
	v_mul_f64 v[78:79], v[78:79], s[10:11]
	v_add_f64 v[28:29], v[28:29], v[68:69]
	v_add_f64 v[30:31], v[30:31], v[72:73]
	v_mul_f64 v[80:81], v[82:83], s[6:7]
	v_mul_f64 v[95:96], v[93:94], s[6:7]
	;; [unrolled: 1-line block ×6, first 2 shown]
	v_fma_f64 v[68:69], v[68:69], s[4:5], v[28:29]
	v_fma_f64 v[72:73], v[72:73], s[4:5], v[30:31]
	;; [unrolled: 1-line block ×4, first 2 shown]
	v_fma_f64 v[80:81], v[97:98], s[14:15], -v[80:81]
	v_fma_f64 v[95:96], v[99:100], s[14:15], -v[95:96]
	;; [unrolled: 1-line block ×4, first 2 shown]
	v_fma_f64 v[97:98], v[70:71], s[22:23], v[101:102]
	v_fma_f64 v[99:100], v[64:65], s[22:23], v[103:104]
	v_fma_f64 v[62:63], v[62:63], s[2:3], -v[101:102]
	v_fma_f64 v[66:67], v[66:67], s[2:3], -v[103:104]
	v_fma_f64 v[70:71], v[70:71], s[24:25], -v[105:106]
	v_fma_f64 v[64:65], v[64:65], s[24:25], -v[107:108]
	v_add_f64 v[82:83], v[82:83], v[68:69]
	v_add_f64 v[93:94], v[93:94], v[72:73]
	;; [unrolled: 1-line block ×6, first 2 shown]
	v_fma_f64 v[97:98], v[74:75], s[18:19], v[97:98]
	v_fma_f64 v[99:100], v[60:61], s[18:19], v[99:100]
	;; [unrolled: 1-line block ×6, first 2 shown]
	v_add_f64 v[62:63], v[93:94], -v[97:98]
	v_add_f64 v[60:61], v[99:100], v[82:83]
	v_add_f64 v[70:71], v[101:102], v[95:96]
	v_add_f64 v[68:69], v[80:81], -v[72:73]
	v_add_f64 v[66:67], v[78:79], -v[103:104]
	v_add_f64 v[64:65], v[105:106], v[76:77]
	v_add_f64 v[72:73], v[72:73], v[80:81]
	v_add_f64 v[74:75], v[95:96], -v[101:102]
	v_add_f64 v[76:77], v[76:77], -v[105:106]
	v_add_f64 v[78:79], v[103:104], v[78:79]
	v_add_f64 v[80:81], v[82:83], -v[99:100]
	v_add_f64 v[82:83], v[97:98], v[93:94]
	ds_write_b128 v85, v[32:35]
	ds_write_b128 v85, v[36:39] offset:4608
	ds_write_b128 v85, v[40:43] offset:9216
	;; [unrolled: 1-line block ×13, first 2 shown]
	s_and_saveexec_b64 s[26:27], vcc
	s_cbranch_execz .LBB0_21
; %bb.20:
	v_subrev_u32_e32 v28, 64, v84
	v_cndmask_b32_e32 v28, v28, v92, vcc
	v_mul_i32_i24_e32 v88, 6, v28
	v_lshlrev_b64 v[28:29], 4, v[88:89]
	v_mov_b32_e32 v30, s9
	v_add_co_u32_e32 v40, vcc, s8, v28
	v_addc_co_u32_e32 v41, vcc, v30, v29, vcc
	v_add_co_u32_e32 v52, vcc, 0x11e0, v40
	v_addc_co_u32_e32 v53, vcc, 0, v41, vcc
	;; [unrolled: 2-line block ×4, first 2 shown]
	global_load_dwordx4 v[28:31], v[54:55], off offset:480
	global_load_dwordx4 v[32:35], v[52:53], off offset:32
	;; [unrolled: 1-line block ×6, first 2 shown]
	s_waitcnt vmcnt(5)
	v_mul_f64 v[56:57], v[6:7], v[30:31]
	s_waitcnt vmcnt(4)
	v_mul_f64 v[52:53], v[14:15], v[34:35]
	;; [unrolled: 2-line block ×3, first 2 shown]
	v_mul_f64 v[38:39], v[8:9], v[38:39]
	s_waitcnt vmcnt(2)
	v_mul_f64 v[58:59], v[26:27], v[42:43]
	s_waitcnt vmcnt(1)
	;; [unrolled: 2-line block ×3, first 2 shown]
	v_mul_f64 v[62:63], v[22:23], v[50:51]
	v_mul_f64 v[42:43], v[24:25], v[42:43]
	;; [unrolled: 1-line block ×6, first 2 shown]
	v_fma_f64 v[12:13], v[12:13], v[32:33], -v[52:53]
	v_fma_f64 v[8:9], v[8:9], v[36:37], -v[54:55]
	v_fma_f64 v[10:11], v[10:11], v[36:37], v[38:39]
	v_fma_f64 v[4:5], v[4:5], v[28:29], -v[56:57]
	v_fma_f64 v[24:25], v[24:25], v[40:41], -v[58:59]
	;; [unrolled: 1-line block ×4, first 2 shown]
	v_fma_f64 v[26:27], v[26:27], v[40:41], v[42:43]
	v_fma_f64 v[6:7], v[6:7], v[28:29], v[30:31]
	;; [unrolled: 1-line block ×5, first 2 shown]
	v_add_f64 v[28:29], v[4:5], -v[24:25]
	v_add_f64 v[30:31], v[16:17], -v[12:13]
	;; [unrolled: 1-line block ×3, first 2 shown]
	v_add_f64 v[4:5], v[4:5], v[24:25]
	v_add_f64 v[34:35], v[6:7], v[26:27]
	;; [unrolled: 1-line block ×6, first 2 shown]
	v_add_f64 v[6:7], v[6:7], -v[26:27]
	v_add_f64 v[14:15], v[18:19], -v[14:15]
	;; [unrolled: 1-line block ×5, first 2 shown]
	v_add_f64 v[20:21], v[30:31], v[32:33]
	v_add_f64 v[22:23], v[36:37], v[34:35]
	;; [unrolled: 1-line block ×3, first 2 shown]
	v_add_f64 v[24:25], v[34:35], -v[38:39]
	v_add_f64 v[40:41], v[4:5], -v[12:13]
	;; [unrolled: 1-line block ×5, first 2 shown]
	v_add_f64 v[14:15], v[14:15], v[10:11]
	v_add_f64 v[4:5], v[8:9], -v[4:5]
	v_add_f64 v[8:9], v[10:11], -v[6:7]
	v_mul_f64 v[10:11], v[18:19], s[16:17]
	v_add_f64 v[18:19], v[20:21], v[28:29]
	v_add_f64 v[20:21], v[38:39], v[22:23]
	v_add_f64 v[12:13], v[12:13], v[30:31]
	v_add_f64 v[26:27], v[38:39], -v[36:37]
	v_add_f64 v[32:33], v[32:33], -v[28:29]
	;; [unrolled: 1-line block ×3, first 2 shown]
	v_mul_f64 v[22:23], v[24:25], s[10:11]
	v_mul_f64 v[28:29], v[40:41], s[10:11]
	;; [unrolled: 1-line block ×3, first 2 shown]
	v_add_f64 v[2:3], v[2:3], v[20:21]
	v_add_f64 v[0:1], v[0:1], v[12:13]
	v_mul_f64 v[24:25], v[26:27], s[6:7]
	v_add_f64 v[6:7], v[14:15], v[6:7]
	v_mul_f64 v[14:15], v[32:33], s[2:3]
	v_mul_f64 v[38:39], v[8:9], s[2:3]
	;; [unrolled: 1-line block ×3, first 2 shown]
	v_fma_f64 v[40:41], v[16:17], s[22:23], v[10:11]
	v_fma_f64 v[26:27], v[26:27], s[6:7], v[22:23]
	;; [unrolled: 1-line block ×6, first 2 shown]
	v_fma_f64 v[14:15], v[16:17], s[24:25], -v[14:15]
	v_fma_f64 v[16:17], v[34:35], s[20:21], -v[22:23]
	;; [unrolled: 1-line block ×8, first 2 shown]
	v_fma_f64 v[30:31], v[18:19], s[18:19], v[40:41]
	v_fma_f64 v[32:33], v[6:7], s[18:19], v[46:47]
	v_add_f64 v[26:27], v[26:27], v[20:21]
	v_add_f64 v[36:37], v[42:43], v[12:13]
	v_fma_f64 v[34:35], v[18:19], s[18:19], v[14:15]
	v_fma_f64 v[18:19], v[18:19], s[18:19], v[10:11]
	v_add_f64 v[16:17], v[16:17], v[20:21]
	v_add_f64 v[20:21], v[24:25], v[20:21]
	v_fma_f64 v[28:29], v[6:7], s[18:19], v[28:29]
	v_add_f64 v[38:39], v[22:23], v[12:13]
	v_fma_f64 v[8:9], v[6:7], s[18:19], v[8:9]
	v_add_f64 v[4:5], v[4:5], v[12:13]
	v_add_f64 v[6:7], v[30:31], v[26:27]
	v_add_f64 v[26:27], v[26:27], -v[30:31]
	v_add_f64 v[24:25], v[32:33], v[36:37]
	v_add_f64 v[14:15], v[20:21], -v[18:19]
	;; [unrolled: 2-line block ×3, first 2 shown]
	v_add_f64 v[20:21], v[28:29], v[38:39]
	v_add_f64 v[10:11], v[34:35], v[16:17]
	v_add_f64 v[16:17], v[4:5], -v[8:9]
	v_add_f64 v[12:13], v[8:9], v[4:5]
	v_add_f64 v[8:9], v[38:39], -v[28:29]
	v_add_f64 v[4:5], v[36:37], -v[32:33]
	ds_write_b128 v85, v[0:3] offset:3584
	ds_write_b128 v85, v[24:27] offset:8192
	;; [unrolled: 1-line block ×7, first 2 shown]
.LBB0_21:
	s_or_b64 exec, exec, s[26:27]
	s_waitcnt lgkmcnt(0)
	s_barrier
	s_and_saveexec_b64 s[2:3], s[0:1]
	s_cbranch_execz .LBB0_23
; %bb.22:
	v_lshl_add_u32 v10, v84, 4, v90
	v_mov_b32_e32 v85, 0
	ds_read_b128 v[0:3], v10
	v_mov_b32_e32 v4, s13
	v_add_co_u32_e32 v11, vcc, s12, v86
	v_addc_co_u32_e32 v12, vcc, v4, v87, vcc
	v_lshlrev_b64 v[4:5], 4, v[84:85]
	v_add_co_u32_e32 v8, vcc, v11, v4
	v_addc_co_u32_e32 v9, vcc, v12, v5, vcc
	ds_read_b128 v[4:7], v10 offset:1792
	s_waitcnt lgkmcnt(1)
	global_store_dwordx4 v[8:9], v[0:3], off
	s_nop 0
	v_add_u32_e32 v0, 0x70, v84
	v_mov_b32_e32 v1, v85
	v_lshlrev_b64 v[0:1], 4, v[0:1]
	v_add_co_u32_e32 v0, vcc, v11, v0
	v_addc_co_u32_e32 v1, vcc, v12, v1, vcc
	s_waitcnt lgkmcnt(0)
	global_store_dwordx4 v[0:1], v[4:7], off
	ds_read_b128 v[0:3], v10 offset:3584
	v_add_u32_e32 v4, 0xe0, v84
	v_mov_b32_e32 v5, v85
	v_lshlrev_b64 v[4:5], 4, v[4:5]
	v_add_co_u32_e32 v8, vcc, v11, v4
	v_addc_co_u32_e32 v9, vcc, v12, v5, vcc
	ds_read_b128 v[4:7], v10 offset:5376
	s_waitcnt lgkmcnt(1)
	global_store_dwordx4 v[8:9], v[0:3], off
	s_nop 0
	v_add_u32_e32 v0, 0x150, v84
	v_mov_b32_e32 v1, v85
	v_lshlrev_b64 v[0:1], 4, v[0:1]
	v_add_co_u32_e32 v0, vcc, v11, v0
	v_addc_co_u32_e32 v1, vcc, v12, v1, vcc
	s_waitcnt lgkmcnt(0)
	global_store_dwordx4 v[0:1], v[4:7], off
	ds_read_b128 v[0:3], v10 offset:7168
	v_add_u32_e32 v4, 0x1c0, v84
	v_mov_b32_e32 v5, v85
	;; [unrolled: 17-line block ×8, first 2 shown]
	v_lshlrev_b64 v[4:5], 4, v[4:5]
	v_add_u32_e32 v84, 0x770, v84
	v_add_co_u32_e32 v8, vcc, v11, v4
	v_addc_co_u32_e32 v9, vcc, v12, v5, vcc
	ds_read_b128 v[4:7], v10 offset:30464
	s_waitcnt lgkmcnt(1)
	global_store_dwordx4 v[8:9], v[0:3], off
	s_nop 0
	v_lshlrev_b64 v[0:1], 4, v[84:85]
	v_add_co_u32_e32 v0, vcc, v11, v0
	v_addc_co_u32_e32 v1, vcc, v12, v1, vcc
	s_waitcnt lgkmcnt(0)
	global_store_dwordx4 v[0:1], v[4:7], off
.LBB0_23:
	s_endpgm
	.section	.rodata,"a",@progbits
	.p2align	6, 0x0
	.amdhsa_kernel fft_rtc_fwd_len2016_factors_2_2_2_2_2_3_3_7_wgs_224_tpt_112_halfLds_dp_ip_CI_unitstride_sbrr_C2R_dirReg
		.amdhsa_group_segment_fixed_size 0
		.amdhsa_private_segment_fixed_size 0
		.amdhsa_kernarg_size 88
		.amdhsa_user_sgpr_count 6
		.amdhsa_user_sgpr_private_segment_buffer 1
		.amdhsa_user_sgpr_dispatch_ptr 0
		.amdhsa_user_sgpr_queue_ptr 0
		.amdhsa_user_sgpr_kernarg_segment_ptr 1
		.amdhsa_user_sgpr_dispatch_id 0
		.amdhsa_user_sgpr_flat_scratch_init 0
		.amdhsa_user_sgpr_private_segment_size 0
		.amdhsa_uses_dynamic_stack 0
		.amdhsa_system_sgpr_private_segment_wavefront_offset 0
		.amdhsa_system_sgpr_workgroup_id_x 1
		.amdhsa_system_sgpr_workgroup_id_y 0
		.amdhsa_system_sgpr_workgroup_id_z 0
		.amdhsa_system_sgpr_workgroup_info 0
		.amdhsa_system_vgpr_workitem_id 0
		.amdhsa_next_free_vgpr 133
		.amdhsa_next_free_sgpr 29
		.amdhsa_reserve_vcc 1
		.amdhsa_reserve_flat_scratch 0
		.amdhsa_float_round_mode_32 0
		.amdhsa_float_round_mode_16_64 0
		.amdhsa_float_denorm_mode_32 3
		.amdhsa_float_denorm_mode_16_64 3
		.amdhsa_dx10_clamp 1
		.amdhsa_ieee_mode 1
		.amdhsa_fp16_overflow 0
		.amdhsa_exception_fp_ieee_invalid_op 0
		.amdhsa_exception_fp_denorm_src 0
		.amdhsa_exception_fp_ieee_div_zero 0
		.amdhsa_exception_fp_ieee_overflow 0
		.amdhsa_exception_fp_ieee_underflow 0
		.amdhsa_exception_fp_ieee_inexact 0
		.amdhsa_exception_int_div_zero 0
	.end_amdhsa_kernel
	.text
.Lfunc_end0:
	.size	fft_rtc_fwd_len2016_factors_2_2_2_2_2_3_3_7_wgs_224_tpt_112_halfLds_dp_ip_CI_unitstride_sbrr_C2R_dirReg, .Lfunc_end0-fft_rtc_fwd_len2016_factors_2_2_2_2_2_3_3_7_wgs_224_tpt_112_halfLds_dp_ip_CI_unitstride_sbrr_C2R_dirReg
                                        ; -- End function
	.section	.AMDGPU.csdata,"",@progbits
; Kernel info:
; codeLenInByte = 16516
; NumSgprs: 33
; NumVgprs: 133
; ScratchSize: 0
; MemoryBound: 0
; FloatMode: 240
; IeeeMode: 1
; LDSByteSize: 0 bytes/workgroup (compile time only)
; SGPRBlocks: 4
; VGPRBlocks: 33
; NumSGPRsForWavesPerEU: 33
; NumVGPRsForWavesPerEU: 133
; Occupancy: 1
; WaveLimiterHint : 1
; COMPUTE_PGM_RSRC2:SCRATCH_EN: 0
; COMPUTE_PGM_RSRC2:USER_SGPR: 6
; COMPUTE_PGM_RSRC2:TRAP_HANDLER: 0
; COMPUTE_PGM_RSRC2:TGID_X_EN: 1
; COMPUTE_PGM_RSRC2:TGID_Y_EN: 0
; COMPUTE_PGM_RSRC2:TGID_Z_EN: 0
; COMPUTE_PGM_RSRC2:TIDIG_COMP_CNT: 0
	.type	__hip_cuid_650c51a311f4f296,@object ; @__hip_cuid_650c51a311f4f296
	.section	.bss,"aw",@nobits
	.globl	__hip_cuid_650c51a311f4f296
__hip_cuid_650c51a311f4f296:
	.byte	0                               ; 0x0
	.size	__hip_cuid_650c51a311f4f296, 1

	.ident	"AMD clang version 19.0.0git (https://github.com/RadeonOpenCompute/llvm-project roc-6.4.0 25133 c7fe45cf4b819c5991fe208aaa96edf142730f1d)"
	.section	".note.GNU-stack","",@progbits
	.addrsig
	.addrsig_sym __hip_cuid_650c51a311f4f296
	.amdgpu_metadata
---
amdhsa.kernels:
  - .args:
      - .actual_access:  read_only
        .address_space:  global
        .offset:         0
        .size:           8
        .value_kind:     global_buffer
      - .offset:         8
        .size:           8
        .value_kind:     by_value
      - .actual_access:  read_only
        .address_space:  global
        .offset:         16
        .size:           8
        .value_kind:     global_buffer
      - .actual_access:  read_only
        .address_space:  global
        .offset:         24
        .size:           8
        .value_kind:     global_buffer
      - .offset:         32
        .size:           8
        .value_kind:     by_value
      - .actual_access:  read_only
        .address_space:  global
        .offset:         40
        .size:           8
        .value_kind:     global_buffer
      - .actual_access:  read_only
        .address_space:  global
        .offset:         48
        .size:           8
        .value_kind:     global_buffer
      - .offset:         56
        .size:           4
        .value_kind:     by_value
      - .actual_access:  read_only
        .address_space:  global
        .offset:         64
        .size:           8
        .value_kind:     global_buffer
      - .actual_access:  read_only
        .address_space:  global
        .offset:         72
        .size:           8
        .value_kind:     global_buffer
      - .address_space:  global
        .offset:         80
        .size:           8
        .value_kind:     global_buffer
    .group_segment_fixed_size: 0
    .kernarg_segment_align: 8
    .kernarg_segment_size: 88
    .language:       OpenCL C
    .language_version:
      - 2
      - 0
    .max_flat_workgroup_size: 224
    .name:           fft_rtc_fwd_len2016_factors_2_2_2_2_2_3_3_7_wgs_224_tpt_112_halfLds_dp_ip_CI_unitstride_sbrr_C2R_dirReg
    .private_segment_fixed_size: 0
    .sgpr_count:     33
    .sgpr_spill_count: 0
    .symbol:         fft_rtc_fwd_len2016_factors_2_2_2_2_2_3_3_7_wgs_224_tpt_112_halfLds_dp_ip_CI_unitstride_sbrr_C2R_dirReg.kd
    .uniform_work_group_size: 1
    .uses_dynamic_stack: false
    .vgpr_count:     133
    .vgpr_spill_count: 0
    .wavefront_size: 64
amdhsa.target:   amdgcn-amd-amdhsa--gfx906
amdhsa.version:
  - 1
  - 2
...

	.end_amdgpu_metadata
